;; amdgpu-corpus repo=ROCm/rocFFT kind=compiled arch=gfx1100 opt=O3
	.text
	.amdgcn_target "amdgcn-amd-amdhsa--gfx1100"
	.amdhsa_code_object_version 6
	.protected	fft_rtc_fwd_len864_factors_3_6_16_3_wgs_54_tpt_54_halfLds_dp_ip_CI_unitstride_sbrr_C2R_dirReg ; -- Begin function fft_rtc_fwd_len864_factors_3_6_16_3_wgs_54_tpt_54_halfLds_dp_ip_CI_unitstride_sbrr_C2R_dirReg
	.globl	fft_rtc_fwd_len864_factors_3_6_16_3_wgs_54_tpt_54_halfLds_dp_ip_CI_unitstride_sbrr_C2R_dirReg
	.p2align	8
	.type	fft_rtc_fwd_len864_factors_3_6_16_3_wgs_54_tpt_54_halfLds_dp_ip_CI_unitstride_sbrr_C2R_dirReg,@function
fft_rtc_fwd_len864_factors_3_6_16_3_wgs_54_tpt_54_halfLds_dp_ip_CI_unitstride_sbrr_C2R_dirReg: ; @fft_rtc_fwd_len864_factors_3_6_16_3_wgs_54_tpt_54_halfLds_dp_ip_CI_unitstride_sbrr_C2R_dirReg
; %bb.0:
	s_clause 0x2
	s_load_b128 s[4:7], s[0:1], 0x0
	s_load_b64 s[8:9], s[0:1], 0x50
	s_load_b64 s[10:11], s[0:1], 0x18
	v_mul_u32_u24_e32 v1, 0x4be, v0
	v_mov_b32_e32 v3, 0
	v_mov_b32_e32 v4, 0
	s_delay_alu instid0(VALU_DEP_3) | instskip(SKIP_1) | instid1(VALU_DEP_1)
	v_lshrrev_b32_e32 v2, 16, v1
	v_mov_b32_e32 v1, 0
	v_dual_mov_b32 v6, v1 :: v_dual_add_nc_u32 v5, s15, v2
	s_waitcnt lgkmcnt(0)
	v_cmp_lt_u64_e64 s2, s[6:7], 2
	s_delay_alu instid0(VALU_DEP_1)
	s_and_b32 vcc_lo, exec_lo, s2
	s_cbranch_vccnz .LBB0_8
; %bb.1:
	s_load_b64 s[2:3], s[0:1], 0x10
	v_mov_b32_e32 v3, 0
	s_add_u32 s12, s10, 8
	v_mov_b32_e32 v4, 0
	s_addc_u32 s13, s11, 0
	s_mov_b64 s[16:17], 1
	s_waitcnt lgkmcnt(0)
	s_add_u32 s14, s2, 8
	s_addc_u32 s15, s3, 0
.LBB0_2:                                ; =>This Inner Loop Header: Depth=1
	s_load_b64 s[18:19], s[14:15], 0x0
                                        ; implicit-def: $vgpr7_vgpr8
	s_mov_b32 s2, exec_lo
	s_waitcnt lgkmcnt(0)
	v_or_b32_e32 v2, s19, v6
	s_delay_alu instid0(VALU_DEP_1)
	v_cmpx_ne_u64_e32 0, v[1:2]
	s_xor_b32 s3, exec_lo, s2
	s_cbranch_execz .LBB0_4
; %bb.3:                                ;   in Loop: Header=BB0_2 Depth=1
	v_cvt_f32_u32_e32 v2, s18
	v_cvt_f32_u32_e32 v7, s19
	s_sub_u32 s2, 0, s18
	s_subb_u32 s20, 0, s19
	s_delay_alu instid0(VALU_DEP_1) | instskip(NEXT) | instid1(VALU_DEP_1)
	v_fmac_f32_e32 v2, 0x4f800000, v7
	v_rcp_f32_e32 v2, v2
	s_waitcnt_depctr 0xfff
	v_mul_f32_e32 v2, 0x5f7ffffc, v2
	s_delay_alu instid0(VALU_DEP_1) | instskip(NEXT) | instid1(VALU_DEP_1)
	v_mul_f32_e32 v7, 0x2f800000, v2
	v_trunc_f32_e32 v7, v7
	s_delay_alu instid0(VALU_DEP_1) | instskip(SKIP_1) | instid1(VALU_DEP_2)
	v_fmac_f32_e32 v2, 0xcf800000, v7
	v_cvt_u32_f32_e32 v7, v7
	v_cvt_u32_f32_e32 v2, v2
	s_delay_alu instid0(VALU_DEP_2) | instskip(NEXT) | instid1(VALU_DEP_2)
	v_mul_lo_u32 v8, s2, v7
	v_mul_hi_u32 v9, s2, v2
	v_mul_lo_u32 v10, s20, v2
	s_delay_alu instid0(VALU_DEP_2) | instskip(SKIP_1) | instid1(VALU_DEP_2)
	v_add_nc_u32_e32 v8, v9, v8
	v_mul_lo_u32 v9, s2, v2
	v_add_nc_u32_e32 v8, v8, v10
	s_delay_alu instid0(VALU_DEP_2) | instskip(NEXT) | instid1(VALU_DEP_2)
	v_mul_hi_u32 v10, v2, v9
	v_mul_lo_u32 v11, v2, v8
	v_mul_hi_u32 v12, v2, v8
	v_mul_hi_u32 v13, v7, v9
	v_mul_lo_u32 v9, v7, v9
	v_mul_hi_u32 v14, v7, v8
	v_mul_lo_u32 v8, v7, v8
	v_add_co_u32 v10, vcc_lo, v10, v11
	v_add_co_ci_u32_e32 v11, vcc_lo, 0, v12, vcc_lo
	s_delay_alu instid0(VALU_DEP_2) | instskip(NEXT) | instid1(VALU_DEP_2)
	v_add_co_u32 v9, vcc_lo, v10, v9
	v_add_co_ci_u32_e32 v9, vcc_lo, v11, v13, vcc_lo
	v_add_co_ci_u32_e32 v10, vcc_lo, 0, v14, vcc_lo
	s_delay_alu instid0(VALU_DEP_2) | instskip(NEXT) | instid1(VALU_DEP_2)
	v_add_co_u32 v8, vcc_lo, v9, v8
	v_add_co_ci_u32_e32 v9, vcc_lo, 0, v10, vcc_lo
	s_delay_alu instid0(VALU_DEP_2) | instskip(NEXT) | instid1(VALU_DEP_2)
	v_add_co_u32 v2, vcc_lo, v2, v8
	v_add_co_ci_u32_e32 v7, vcc_lo, v7, v9, vcc_lo
	s_delay_alu instid0(VALU_DEP_2) | instskip(SKIP_1) | instid1(VALU_DEP_3)
	v_mul_hi_u32 v8, s2, v2
	v_mul_lo_u32 v10, s20, v2
	v_mul_lo_u32 v9, s2, v7
	s_delay_alu instid0(VALU_DEP_1) | instskip(SKIP_1) | instid1(VALU_DEP_2)
	v_add_nc_u32_e32 v8, v8, v9
	v_mul_lo_u32 v9, s2, v2
	v_add_nc_u32_e32 v8, v8, v10
	s_delay_alu instid0(VALU_DEP_2) | instskip(NEXT) | instid1(VALU_DEP_2)
	v_mul_hi_u32 v10, v2, v9
	v_mul_lo_u32 v11, v2, v8
	v_mul_hi_u32 v12, v2, v8
	v_mul_hi_u32 v13, v7, v9
	v_mul_lo_u32 v9, v7, v9
	v_mul_hi_u32 v14, v7, v8
	v_mul_lo_u32 v8, v7, v8
	v_add_co_u32 v10, vcc_lo, v10, v11
	v_add_co_ci_u32_e32 v11, vcc_lo, 0, v12, vcc_lo
	s_delay_alu instid0(VALU_DEP_2) | instskip(NEXT) | instid1(VALU_DEP_2)
	v_add_co_u32 v9, vcc_lo, v10, v9
	v_add_co_ci_u32_e32 v9, vcc_lo, v11, v13, vcc_lo
	v_add_co_ci_u32_e32 v10, vcc_lo, 0, v14, vcc_lo
	s_delay_alu instid0(VALU_DEP_2) | instskip(NEXT) | instid1(VALU_DEP_2)
	v_add_co_u32 v8, vcc_lo, v9, v8
	v_add_co_ci_u32_e32 v9, vcc_lo, 0, v10, vcc_lo
	s_delay_alu instid0(VALU_DEP_2) | instskip(NEXT) | instid1(VALU_DEP_2)
	v_add_co_u32 v2, vcc_lo, v2, v8
	v_add_co_ci_u32_e32 v13, vcc_lo, v7, v9, vcc_lo
	s_delay_alu instid0(VALU_DEP_2) | instskip(SKIP_1) | instid1(VALU_DEP_3)
	v_mul_hi_u32 v14, v5, v2
	v_mad_u64_u32 v[9:10], null, v6, v2, 0
	v_mad_u64_u32 v[7:8], null, v5, v13, 0
	;; [unrolled: 1-line block ×3, first 2 shown]
	s_delay_alu instid0(VALU_DEP_2) | instskip(NEXT) | instid1(VALU_DEP_3)
	v_add_co_u32 v2, vcc_lo, v14, v7
	v_add_co_ci_u32_e32 v7, vcc_lo, 0, v8, vcc_lo
	s_delay_alu instid0(VALU_DEP_2) | instskip(NEXT) | instid1(VALU_DEP_2)
	v_add_co_u32 v2, vcc_lo, v2, v9
	v_add_co_ci_u32_e32 v2, vcc_lo, v7, v10, vcc_lo
	v_add_co_ci_u32_e32 v7, vcc_lo, 0, v12, vcc_lo
	s_delay_alu instid0(VALU_DEP_2) | instskip(NEXT) | instid1(VALU_DEP_2)
	v_add_co_u32 v2, vcc_lo, v2, v11
	v_add_co_ci_u32_e32 v9, vcc_lo, 0, v7, vcc_lo
	s_delay_alu instid0(VALU_DEP_2) | instskip(SKIP_1) | instid1(VALU_DEP_3)
	v_mul_lo_u32 v10, s19, v2
	v_mad_u64_u32 v[7:8], null, s18, v2, 0
	v_mul_lo_u32 v11, s18, v9
	s_delay_alu instid0(VALU_DEP_2) | instskip(NEXT) | instid1(VALU_DEP_2)
	v_sub_co_u32 v7, vcc_lo, v5, v7
	v_add3_u32 v8, v8, v11, v10
	s_delay_alu instid0(VALU_DEP_1) | instskip(NEXT) | instid1(VALU_DEP_1)
	v_sub_nc_u32_e32 v10, v6, v8
	v_subrev_co_ci_u32_e64 v10, s2, s19, v10, vcc_lo
	v_add_co_u32 v11, s2, v2, 2
	s_delay_alu instid0(VALU_DEP_1) | instskip(SKIP_3) | instid1(VALU_DEP_3)
	v_add_co_ci_u32_e64 v12, s2, 0, v9, s2
	v_sub_co_u32 v13, s2, v7, s18
	v_sub_co_ci_u32_e32 v8, vcc_lo, v6, v8, vcc_lo
	v_subrev_co_ci_u32_e64 v10, s2, 0, v10, s2
	v_cmp_le_u32_e32 vcc_lo, s18, v13
	s_delay_alu instid0(VALU_DEP_3) | instskip(SKIP_1) | instid1(VALU_DEP_4)
	v_cmp_eq_u32_e64 s2, s19, v8
	v_cndmask_b32_e64 v13, 0, -1, vcc_lo
	v_cmp_le_u32_e32 vcc_lo, s19, v10
	v_cndmask_b32_e64 v14, 0, -1, vcc_lo
	v_cmp_le_u32_e32 vcc_lo, s18, v7
	;; [unrolled: 2-line block ×3, first 2 shown]
	v_cndmask_b32_e64 v15, 0, -1, vcc_lo
	v_cmp_eq_u32_e32 vcc_lo, s19, v10
	s_delay_alu instid0(VALU_DEP_2) | instskip(SKIP_3) | instid1(VALU_DEP_3)
	v_cndmask_b32_e64 v7, v15, v7, s2
	v_cndmask_b32_e32 v10, v14, v13, vcc_lo
	v_add_co_u32 v13, vcc_lo, v2, 1
	v_add_co_ci_u32_e32 v14, vcc_lo, 0, v9, vcc_lo
	v_cmp_ne_u32_e32 vcc_lo, 0, v10
	s_delay_alu instid0(VALU_DEP_2) | instskip(NEXT) | instid1(VALU_DEP_4)
	v_cndmask_b32_e32 v8, v14, v12, vcc_lo
	v_cndmask_b32_e32 v10, v13, v11, vcc_lo
	v_cmp_ne_u32_e32 vcc_lo, 0, v7
	s_delay_alu instid0(VALU_DEP_2)
	v_dual_cndmask_b32 v7, v2, v10 :: v_dual_cndmask_b32 v8, v9, v8
.LBB0_4:                                ;   in Loop: Header=BB0_2 Depth=1
	s_and_not1_saveexec_b32 s2, s3
	s_cbranch_execz .LBB0_6
; %bb.5:                                ;   in Loop: Header=BB0_2 Depth=1
	v_cvt_f32_u32_e32 v2, s18
	s_sub_i32 s3, 0, s18
	s_delay_alu instid0(VALU_DEP_1) | instskip(SKIP_2) | instid1(VALU_DEP_1)
	v_rcp_iflag_f32_e32 v2, v2
	s_waitcnt_depctr 0xfff
	v_mul_f32_e32 v2, 0x4f7ffffe, v2
	v_cvt_u32_f32_e32 v2, v2
	s_delay_alu instid0(VALU_DEP_1) | instskip(NEXT) | instid1(VALU_DEP_1)
	v_mul_lo_u32 v7, s3, v2
	v_mul_hi_u32 v7, v2, v7
	s_delay_alu instid0(VALU_DEP_1) | instskip(NEXT) | instid1(VALU_DEP_1)
	v_add_nc_u32_e32 v2, v2, v7
	v_mul_hi_u32 v2, v5, v2
	s_delay_alu instid0(VALU_DEP_1) | instskip(SKIP_1) | instid1(VALU_DEP_2)
	v_mul_lo_u32 v7, v2, s18
	v_add_nc_u32_e32 v8, 1, v2
	v_sub_nc_u32_e32 v7, v5, v7
	s_delay_alu instid0(VALU_DEP_1) | instskip(SKIP_1) | instid1(VALU_DEP_2)
	v_subrev_nc_u32_e32 v9, s18, v7
	v_cmp_le_u32_e32 vcc_lo, s18, v7
	v_dual_cndmask_b32 v7, v7, v9 :: v_dual_cndmask_b32 v2, v2, v8
	s_delay_alu instid0(VALU_DEP_1) | instskip(NEXT) | instid1(VALU_DEP_2)
	v_cmp_le_u32_e32 vcc_lo, s18, v7
	v_add_nc_u32_e32 v8, 1, v2
	s_delay_alu instid0(VALU_DEP_1)
	v_dual_cndmask_b32 v7, v2, v8 :: v_dual_mov_b32 v8, v1
.LBB0_6:                                ;   in Loop: Header=BB0_2 Depth=1
	s_or_b32 exec_lo, exec_lo, s2
	s_load_b64 s[2:3], s[12:13], 0x0
	s_delay_alu instid0(VALU_DEP_1) | instskip(NEXT) | instid1(VALU_DEP_2)
	v_mul_lo_u32 v2, v8, s18
	v_mul_lo_u32 v11, v7, s19
	v_mad_u64_u32 v[9:10], null, v7, s18, 0
	s_add_u32 s16, s16, 1
	s_addc_u32 s17, s17, 0
	s_add_u32 s12, s12, 8
	s_addc_u32 s13, s13, 0
	;; [unrolled: 2-line block ×3, first 2 shown]
	s_delay_alu instid0(VALU_DEP_1) | instskip(SKIP_1) | instid1(VALU_DEP_2)
	v_add3_u32 v2, v10, v11, v2
	v_sub_co_u32 v9, vcc_lo, v5, v9
	v_sub_co_ci_u32_e32 v2, vcc_lo, v6, v2, vcc_lo
	s_waitcnt lgkmcnt(0)
	s_delay_alu instid0(VALU_DEP_2) | instskip(NEXT) | instid1(VALU_DEP_2)
	v_mul_lo_u32 v10, s3, v9
	v_mul_lo_u32 v2, s2, v2
	v_mad_u64_u32 v[5:6], null, s2, v9, v[3:4]
	v_cmp_ge_u64_e64 s2, s[16:17], s[6:7]
	s_delay_alu instid0(VALU_DEP_1) | instskip(NEXT) | instid1(VALU_DEP_2)
	s_and_b32 vcc_lo, exec_lo, s2
	v_add3_u32 v4, v10, v6, v2
	s_delay_alu instid0(VALU_DEP_3)
	v_mov_b32_e32 v3, v5
	s_cbranch_vccnz .LBB0_9
; %bb.7:                                ;   in Loop: Header=BB0_2 Depth=1
	v_dual_mov_b32 v5, v7 :: v_dual_mov_b32 v6, v8
	s_branch .LBB0_2
.LBB0_8:
	v_dual_mov_b32 v8, v6 :: v_dual_mov_b32 v7, v5
.LBB0_9:
	s_lshl_b64 s[2:3], s[6:7], 3
	s_delay_alu instid0(SALU_CYCLE_1)
	s_add_u32 s2, s10, s2
	s_addc_u32 s3, s11, s3
	s_load_b64 s[2:3], s[2:3], 0x0
	s_load_b64 s[0:1], s[0:1], 0x20
	s_waitcnt lgkmcnt(0)
	v_mul_lo_u32 v5, s2, v8
	v_mul_lo_u32 v6, s3, v7
	v_mad_u64_u32 v[1:2], null, s2, v7, v[3:4]
	v_mul_hi_u32 v3, 0x4bda130, v0
	v_cmp_gt_u64_e32 vcc_lo, s[0:1], v[7:8]
	s_delay_alu instid0(VALU_DEP_3) | instskip(NEXT) | instid1(VALU_DEP_3)
	v_add3_u32 v2, v6, v2, v5
	v_mul_u32_u24_e32 v3, 54, v3
	s_delay_alu instid0(VALU_DEP_2) | instskip(NEXT) | instid1(VALU_DEP_2)
	v_lshlrev_b64 v[74:75], 4, v[1:2]
	v_sub_nc_u32_e32 v72, v0, v3
	s_and_saveexec_b32 s1, vcc_lo
	s_cbranch_execz .LBB0_13
; %bb.10:
	v_mov_b32_e32 v73, 0
	s_delay_alu instid0(VALU_DEP_3) | instskip(NEXT) | instid1(VALU_DEP_1)
	v_add_co_u32 v0, s0, s8, v74
	v_add_co_ci_u32_e64 v1, s0, s9, v75, s0
	s_delay_alu instid0(VALU_DEP_3) | instskip(SKIP_2) | instid1(VALU_DEP_2)
	v_lshlrev_b64 v[2:3], 4, v[72:73]
	v_lshl_add_u32 v66, v72, 4, 0
	s_mov_b32 s2, exec_lo
	v_add_co_u32 v42, s0, v0, v2
	s_delay_alu instid0(VALU_DEP_1) | instskip(NEXT) | instid1(VALU_DEP_2)
	v_add_co_ci_u32_e64 v43, s0, v1, v3, s0
	v_add_co_u32 v38, s0, 0x1000, v42
	s_delay_alu instid0(VALU_DEP_1) | instskip(SKIP_1) | instid1(VALU_DEP_1)
	v_add_co_ci_u32_e64 v39, s0, 0, v43, s0
	v_add_co_u32 v58, s0, 0x2000, v42
	v_add_co_ci_u32_e64 v59, s0, 0, v43, s0
	v_add_co_u32 v62, s0, 0x3000, v42
	s_delay_alu instid0(VALU_DEP_1)
	v_add_co_ci_u32_e64 v63, s0, 0, v43, s0
	s_clause 0xf
	global_load_b128 v[2:5], v[42:43], off
	global_load_b128 v[6:9], v[42:43], off offset:864
	global_load_b128 v[10:13], v[42:43], off offset:1728
	;; [unrolled: 1-line block ×15, first 2 shown]
	s_waitcnt vmcnt(15)
	ds_store_b128 v66, v[2:5]
	s_waitcnt vmcnt(14)
	ds_store_b128 v66, v[6:9] offset:864
	s_waitcnt vmcnt(13)
	ds_store_b128 v66, v[10:13] offset:1728
	s_waitcnt vmcnt(12)
	ds_store_b128 v66, v[14:17] offset:2592
	s_waitcnt vmcnt(11)
	ds_store_b128 v66, v[18:21] offset:3456
	s_waitcnt vmcnt(10)
	ds_store_b128 v66, v[22:25] offset:4320
	s_waitcnt vmcnt(9)
	ds_store_b128 v66, v[26:29] offset:5184
	s_waitcnt vmcnt(8)
	ds_store_b128 v66, v[30:33] offset:6048
	s_waitcnt vmcnt(7)
	ds_store_b128 v66, v[34:37] offset:6912
	s_waitcnt vmcnt(6)
	ds_store_b128 v66, v[38:41] offset:7776
	s_waitcnt vmcnt(5)
	ds_store_b128 v66, v[42:45] offset:8640
	s_waitcnt vmcnt(4)
	ds_store_b128 v66, v[46:49] offset:9504
	s_waitcnt vmcnt(3)
	ds_store_b128 v66, v[50:53] offset:10368
	s_waitcnt vmcnt(2)
	ds_store_b128 v66, v[54:57] offset:11232
	s_waitcnt vmcnt(1)
	ds_store_b128 v66, v[58:61] offset:12096
	s_waitcnt vmcnt(0)
	ds_store_b128 v66, v[62:65] offset:12960
	v_cmpx_eq_u32_e32 53, v72
	s_cbranch_execz .LBB0_12
; %bb.11:
	v_add_co_u32 v0, s0, 0x3000, v0
	s_delay_alu instid0(VALU_DEP_1)
	v_add_co_ci_u32_e64 v1, s0, 0, v1, s0
	v_mov_b32_e32 v72, 53
	global_load_b128 v[0:3], v[0:1], off offset:1536
	s_waitcnt vmcnt(0)
	ds_store_b128 v73, v[0:3] offset:13824
.LBB0_12:
	s_or_b32 exec_lo, exec_lo, s2
.LBB0_13:
	s_delay_alu instid0(SALU_CYCLE_1) | instskip(NEXT) | instid1(VALU_DEP_1)
	s_or_b32 exec_lo, exec_lo, s1
	v_lshlrev_b32_e32 v0, 4, v72
	s_waitcnt lgkmcnt(0)
	s_barrier
	buffer_gl0_inv
	s_add_u32 s1, s4, 0x35d0
	v_add_nc_u32_e32 v78, 0, v0
	v_sub_nc_u32_e32 v10, 0, v0
	s_addc_u32 s2, s5, 0
	s_mov_b32 s3, exec_lo
                                        ; implicit-def: $vgpr4_vgpr5
	ds_load_b64 v[6:7], v78
	ds_load_b64 v[8:9], v10 offset:13824
	s_waitcnt lgkmcnt(0)
	v_add_f64 v[0:1], v[6:7], v[8:9]
	v_add_f64 v[2:3], v[6:7], -v[8:9]
	v_cmpx_ne_u32_e32 0, v72
	s_xor_b32 s3, exec_lo, s3
	s_cbranch_execz .LBB0_15
; %bb.14:
	v_mov_b32_e32 v73, 0
	v_add_f64 v[13:14], v[6:7], v[8:9]
	v_add_f64 v[15:16], v[6:7], -v[8:9]
	s_delay_alu instid0(VALU_DEP_3) | instskip(NEXT) | instid1(VALU_DEP_1)
	v_lshlrev_b64 v[0:1], 4, v[72:73]
	v_add_co_u32 v0, s0, s1, v0
	s_delay_alu instid0(VALU_DEP_1)
	v_add_co_ci_u32_e64 v1, s0, s2, v1, s0
	global_load_b128 v[2:5], v[0:1], off
	ds_load_b64 v[0:1], v10 offset:13832
	ds_load_b64 v[11:12], v78 offset:8
	s_waitcnt lgkmcnt(0)
	v_add_f64 v[6:7], v[0:1], v[11:12]
	v_add_f64 v[0:1], v[11:12], -v[0:1]
	s_waitcnt vmcnt(0)
	v_fma_f64 v[8:9], v[15:16], v[4:5], v[13:14]
	v_fma_f64 v[11:12], -v[15:16], v[4:5], v[13:14]
	s_delay_alu instid0(VALU_DEP_3) | instskip(SKIP_1) | instid1(VALU_DEP_4)
	v_fma_f64 v[13:14], v[6:7], v[4:5], -v[0:1]
	v_fma_f64 v[4:5], v[6:7], v[4:5], v[0:1]
	v_fma_f64 v[0:1], -v[6:7], v[2:3], v[8:9]
	s_delay_alu instid0(VALU_DEP_4) | instskip(NEXT) | instid1(VALU_DEP_4)
	v_fma_f64 v[6:7], v[6:7], v[2:3], v[11:12]
	v_fma_f64 v[8:9], v[15:16], v[2:3], v[13:14]
	s_delay_alu instid0(VALU_DEP_4)
	v_fma_f64 v[2:3], v[15:16], v[2:3], v[4:5]
	v_dual_mov_b32 v4, v72 :: v_dual_mov_b32 v5, v73
	ds_store_b128 v10, v[6:9] offset:13824
.LBB0_15:
	s_and_not1_saveexec_b32 s0, s3
	s_cbranch_execz .LBB0_17
; %bb.16:
	v_mov_b32_e32 v8, 0
	ds_load_b128 v[4:7], v8 offset:6912
	s_waitcnt lgkmcnt(0)
	v_add_f64 v[11:12], v[4:5], v[4:5]
	v_mul_f64 v[13:14], v[6:7], -2.0
	v_mov_b32_e32 v4, 0
	v_mov_b32_e32 v5, 0
	ds_store_b128 v8, v[11:14] offset:6912
.LBB0_17:
	s_or_b32 exec_lo, exec_lo, s0
	v_lshlrev_b64 v[4:5], 4, v[4:5]
	s_mov_b32 s3, 0xbfebb67a
	s_delay_alu instid0(VALU_DEP_1) | instskip(NEXT) | instid1(VALU_DEP_1)
	v_add_co_u32 v23, s0, s1, v4
	v_add_co_ci_u32_e64 v24, s0, s2, v5, s0
	s_clause 0x1
	global_load_b128 v[4:7], v[23:24], off offset:864
	global_load_b128 v[11:14], v[23:24], off offset:1728
	ds_store_b128 v78, v[0:3]
	ds_load_b128 v[0:3], v78 offset:864
	ds_load_b128 v[15:18], v10 offset:12960
	global_load_b128 v[19:22], v[23:24], off offset:2592
	s_waitcnt lgkmcnt(0)
	v_add_f64 v[8:9], v[0:1], v[15:16]
	v_add_f64 v[25:26], v[17:18], v[2:3]
	v_add_f64 v[15:16], v[0:1], -v[15:16]
	v_add_f64 v[0:1], v[2:3], -v[17:18]
	s_waitcnt vmcnt(2)
	s_delay_alu instid0(VALU_DEP_2) | instskip(NEXT) | instid1(VALU_DEP_2)
	v_fma_f64 v[2:3], v[15:16], v[6:7], v[8:9]
	v_fma_f64 v[17:18], v[25:26], v[6:7], v[0:1]
	v_fma_f64 v[8:9], -v[15:16], v[6:7], v[8:9]
	v_fma_f64 v[27:28], v[25:26], v[6:7], -v[0:1]
	s_delay_alu instid0(VALU_DEP_4) | instskip(NEXT) | instid1(VALU_DEP_4)
	v_fma_f64 v[0:1], -v[25:26], v[4:5], v[2:3]
	v_fma_f64 v[2:3], v[15:16], v[4:5], v[17:18]
	s_delay_alu instid0(VALU_DEP_4) | instskip(NEXT) | instid1(VALU_DEP_4)
	v_fma_f64 v[6:7], v[25:26], v[4:5], v[8:9]
	v_fma_f64 v[8:9], v[15:16], v[4:5], v[27:28]
	ds_store_b128 v78, v[0:3] offset:864
	ds_store_b128 v10, v[6:9] offset:12960
	ds_load_b128 v[0:3], v78 offset:1728
	ds_load_b128 v[4:7], v10 offset:12096
	global_load_b128 v[15:18], v[23:24], off offset:3456
	s_waitcnt lgkmcnt(0)
	v_add_f64 v[8:9], v[0:1], v[4:5]
	v_add_f64 v[25:26], v[6:7], v[2:3]
	v_add_f64 v[27:28], v[0:1], -v[4:5]
	v_add_f64 v[0:1], v[2:3], -v[6:7]
	s_waitcnt vmcnt(2)
	s_delay_alu instid0(VALU_DEP_2) | instskip(NEXT) | instid1(VALU_DEP_2)
	v_fma_f64 v[2:3], v[27:28], v[13:14], v[8:9]
	v_fma_f64 v[4:5], v[25:26], v[13:14], v[0:1]
	v_fma_f64 v[6:7], -v[27:28], v[13:14], v[8:9]
	v_fma_f64 v[8:9], v[25:26], v[13:14], -v[0:1]
	s_delay_alu instid0(VALU_DEP_4) | instskip(NEXT) | instid1(VALU_DEP_4)
	v_fma_f64 v[0:1], -v[25:26], v[11:12], v[2:3]
	v_fma_f64 v[2:3], v[27:28], v[11:12], v[4:5]
	s_delay_alu instid0(VALU_DEP_4) | instskip(NEXT) | instid1(VALU_DEP_4)
	v_fma_f64 v[4:5], v[25:26], v[11:12], v[6:7]
	v_fma_f64 v[6:7], v[27:28], v[11:12], v[8:9]
	v_add_co_u32 v8, s0, 0x1000, v23
	s_delay_alu instid0(VALU_DEP_1)
	v_add_co_ci_u32_e64 v9, s0, 0, v24, s0
	s_mov_b32 s0, 0xe8584caa
	s_mov_b32 s1, 0x3febb67a
	;; [unrolled: 1-line block ×3, first 2 shown]
	ds_store_b128 v78, v[0:3] offset:1728
	ds_store_b128 v10, v[4:7] offset:12096
	ds_load_b128 v[0:3], v78 offset:2592
	ds_load_b128 v[4:7], v10 offset:11232
	global_load_b128 v[11:14], v[8:9], off offset:224
	s_waitcnt lgkmcnt(0)
	v_add_f64 v[23:24], v[0:1], v[4:5]
	v_add_f64 v[25:26], v[6:7], v[2:3]
	v_add_f64 v[27:28], v[0:1], -v[4:5]
	v_add_f64 v[0:1], v[2:3], -v[6:7]
	s_waitcnt vmcnt(2)
	s_delay_alu instid0(VALU_DEP_2) | instskip(NEXT) | instid1(VALU_DEP_2)
	v_fma_f64 v[2:3], v[27:28], v[21:22], v[23:24]
	v_fma_f64 v[4:5], v[25:26], v[21:22], v[0:1]
	v_fma_f64 v[6:7], -v[27:28], v[21:22], v[23:24]
	v_fma_f64 v[21:22], v[25:26], v[21:22], -v[0:1]
	s_delay_alu instid0(VALU_DEP_4) | instskip(NEXT) | instid1(VALU_DEP_4)
	v_fma_f64 v[0:1], -v[25:26], v[19:20], v[2:3]
	v_fma_f64 v[2:3], v[27:28], v[19:20], v[4:5]
	s_delay_alu instid0(VALU_DEP_4) | instskip(NEXT) | instid1(VALU_DEP_4)
	v_fma_f64 v[4:5], v[25:26], v[19:20], v[6:7]
	v_fma_f64 v[6:7], v[27:28], v[19:20], v[21:22]
	ds_store_b128 v78, v[0:3] offset:2592
	ds_store_b128 v10, v[4:7] offset:11232
	ds_load_b128 v[0:3], v78 offset:3456
	ds_load_b128 v[4:7], v10 offset:10368
	global_load_b128 v[19:22], v[8:9], off offset:1088
	s_waitcnt lgkmcnt(0)
	v_add_f64 v[23:24], v[0:1], v[4:5]
	v_add_f64 v[25:26], v[6:7], v[2:3]
	v_add_f64 v[27:28], v[0:1], -v[4:5]
	v_add_f64 v[0:1], v[2:3], -v[6:7]
	s_waitcnt vmcnt(2)
	s_delay_alu instid0(VALU_DEP_2) | instskip(NEXT) | instid1(VALU_DEP_2)
	v_fma_f64 v[2:3], v[27:28], v[17:18], v[23:24]
	v_fma_f64 v[4:5], v[25:26], v[17:18], v[0:1]
	v_fma_f64 v[6:7], -v[27:28], v[17:18], v[23:24]
	v_fma_f64 v[17:18], v[25:26], v[17:18], -v[0:1]
	s_delay_alu instid0(VALU_DEP_4) | instskip(NEXT) | instid1(VALU_DEP_4)
	v_fma_f64 v[0:1], -v[25:26], v[15:16], v[2:3]
	v_fma_f64 v[2:3], v[27:28], v[15:16], v[4:5]
	s_delay_alu instid0(VALU_DEP_4) | instskip(NEXT) | instid1(VALU_DEP_4)
	v_fma_f64 v[4:5], v[25:26], v[15:16], v[6:7]
	v_fma_f64 v[6:7], v[27:28], v[15:16], v[17:18]
	;; [unrolled: 22-line block ×3, first 2 shown]
	ds_store_b128 v78, v[0:3] offset:4320
	ds_store_b128 v10, v[4:7] offset:9504
	ds_load_b128 v[0:3], v78 offset:5184
	ds_load_b128 v[4:7], v10 offset:8640
	s_waitcnt lgkmcnt(0)
	v_add_f64 v[8:9], v[0:1], v[4:5]
	v_add_f64 v[11:12], v[6:7], v[2:3]
	v_add_f64 v[13:14], v[0:1], -v[4:5]
	v_add_f64 v[0:1], v[2:3], -v[6:7]
	s_waitcnt vmcnt(1)
	s_delay_alu instid0(VALU_DEP_2) | instskip(NEXT) | instid1(VALU_DEP_2)
	v_fma_f64 v[2:3], v[13:14], v[21:22], v[8:9]
	v_fma_f64 v[4:5], v[11:12], v[21:22], v[0:1]
	v_fma_f64 v[6:7], -v[13:14], v[21:22], v[8:9]
	v_fma_f64 v[8:9], v[11:12], v[21:22], -v[0:1]
	s_delay_alu instid0(VALU_DEP_4) | instskip(NEXT) | instid1(VALU_DEP_4)
	v_fma_f64 v[0:1], -v[11:12], v[19:20], v[2:3]
	v_fma_f64 v[2:3], v[13:14], v[19:20], v[4:5]
	s_delay_alu instid0(VALU_DEP_4) | instskip(NEXT) | instid1(VALU_DEP_4)
	v_fma_f64 v[4:5], v[11:12], v[19:20], v[6:7]
	v_fma_f64 v[6:7], v[13:14], v[19:20], v[8:9]
	ds_store_b128 v78, v[0:3] offset:5184
	ds_store_b128 v10, v[4:7] offset:8640
	ds_load_b128 v[0:3], v78 offset:6048
	ds_load_b128 v[4:7], v10 offset:7776
	s_waitcnt lgkmcnt(0)
	v_add_f64 v[8:9], v[0:1], v[4:5]
	v_add_f64 v[11:12], v[6:7], v[2:3]
	v_add_f64 v[13:14], v[0:1], -v[4:5]
	v_add_f64 v[0:1], v[2:3], -v[6:7]
	s_waitcnt vmcnt(0)
	s_delay_alu instid0(VALU_DEP_2) | instskip(NEXT) | instid1(VALU_DEP_2)
	v_fma_f64 v[2:3], v[13:14], v[17:18], v[8:9]
	v_fma_f64 v[4:5], v[11:12], v[17:18], v[0:1]
	v_fma_f64 v[6:7], -v[13:14], v[17:18], v[8:9]
	v_fma_f64 v[8:9], v[11:12], v[17:18], -v[0:1]
	s_delay_alu instid0(VALU_DEP_4) | instskip(NEXT) | instid1(VALU_DEP_4)
	v_fma_f64 v[0:1], -v[11:12], v[15:16], v[2:3]
	v_fma_f64 v[2:3], v[13:14], v[15:16], v[4:5]
	s_delay_alu instid0(VALU_DEP_4) | instskip(NEXT) | instid1(VALU_DEP_4)
	v_fma_f64 v[4:5], v[11:12], v[15:16], v[6:7]
	v_fma_f64 v[6:7], v[13:14], v[15:16], v[8:9]
	ds_store_b128 v78, v[0:3] offset:6048
	ds_store_b128 v10, v[4:7] offset:7776
	s_waitcnt lgkmcnt(0)
	s_barrier
	buffer_gl0_inv
	s_barrier
	buffer_gl0_inv
	ds_load_b128 v[0:3], v78 offset:9216
	ds_load_b128 v[4:7], v78 offset:4608
	ds_load_b128 v[8:11], v78 offset:5472
	ds_load_b128 v[12:15], v78 offset:10080
	ds_load_b128 v[16:19], v78 offset:10944
	ds_load_b128 v[20:23], v78 offset:6336
	ds_load_b128 v[24:27], v78 offset:7200
	ds_load_b128 v[28:31], v78 offset:11808
	ds_load_b128 v[32:35], v78 offset:12672
	ds_load_b128 v[36:39], v78 offset:8064
	ds_load_b128 v[40:43], v78 offset:8928
	ds_load_b128 v[44:47], v78 offset:13536
	ds_load_b128 v[48:51], v78
	ds_load_b128 v[52:55], v78 offset:864
	ds_load_b128 v[56:59], v78 offset:1728
	;; [unrolled: 1-line block ×5, first 2 shown]
	s_waitcnt lgkmcnt(0)
	s_barrier
	buffer_gl0_inv
	v_add_f64 v[76:77], v[4:5], v[0:1]
	v_add_f64 v[79:80], v[6:7], v[2:3]
	;; [unrolled: 1-line block ×14, first 2 shown]
	v_add_f64 v[6:7], v[6:7], -v[2:3]
	v_add_f64 v[4:5], v[4:5], -v[0:1]
	v_add_f64 v[117:118], v[64:65], v[36:37]
	v_add_f64 v[119:120], v[66:67], v[38:39]
	;; [unrolled: 1-line block ×4, first 2 shown]
	v_add_f64 v[129:130], v[38:39], -v[34:35]
	v_add_f64 v[131:132], v[36:37], -v[32:33]
	;; [unrolled: 1-line block ×4, first 2 shown]
	v_add_f64 v[105:106], v[52:53], v[8:9]
	v_add_f64 v[107:108], v[54:55], v[10:11]
	;; [unrolled: 1-line block ×6, first 2 shown]
	v_add_f64 v[125:126], v[26:27], -v[30:31]
	v_add_f64 v[127:128], v[24:25], -v[28:29]
	v_fma_f64 v[48:49], v[76:77], -0.5, v[48:49]
	v_fma_f64 v[50:51], v[79:80], -0.5, v[50:51]
	v_add_f64 v[76:77], v[10:11], -v[14:15]
	v_add_f64 v[79:80], v[8:9], -v[12:13]
	v_fma_f64 v[52:53], v[81:82], -0.5, v[52:53]
	v_fma_f64 v[54:55], v[83:84], -0.5, v[54:55]
	;; [unrolled: 4-line block ×3, first 2 shown]
	v_fma_f64 v[97:98], v[97:98], -0.5, v[68:69]
	v_fma_f64 v[99:100], v[99:100], -0.5, v[70:71]
	;; [unrolled: 1-line block ×6, first 2 shown]
	v_add_f64 v[20:21], v[101:102], v[0:1]
	v_add_f64 v[22:23], v[103:104], v[2:3]
	;; [unrolled: 1-line block ×12, first 2 shown]
	v_lshl_add_u32 v12, v72, 5, v78
	s_delay_alu instid0(VALU_DEP_1)
	v_add_nc_u32_e32 v17, 0x2888, v12
	v_add_nc_u32_e32 v18, 0x2898, v12
	v_fma_f64 v[32:33], v[6:7], s[0:1], v[48:49]
	v_fma_f64 v[36:37], v[6:7], s[2:3], v[48:49]
	;; [unrolled: 1-line block ×24, first 2 shown]
	v_cmp_gt_u32_e64 s0, 18, v72
	ds_store_b64 v12, v[8:9] offset:10368
	ds_store_b128 v12, v[20:23]
	ds_store_b128 v12, v[32:35] offset:16
	ds_store_b128 v12, v[36:39] offset:32
	;; [unrolled: 1-line block ×11, first 2 shown]
	ds_store_2addr_b64 v17, v[10:11], v[70:71] offset1:1
	ds_store_2addr_b64 v18, v[68:69], v[0:1] offset1:1
	ds_store_b64 v12, v[2:3] offset:10408
	s_and_saveexec_b32 s1, s0
	s_cbranch_execz .LBB0_19
; %bb.18:
	ds_store_b128 v12, v[44:47] offset:12960
	ds_store_b128 v12, v[4:7] offset:12976
	ds_store_b128 v12, v[48:51] offset:12992
.LBB0_19:
	s_or_b32 exec_lo, exec_lo, s1
	s_waitcnt lgkmcnt(0)
	s_barrier
	buffer_gl0_inv
	ds_load_b128 v[16:19], v78
	ds_load_b128 v[12:15], v78 offset:864
	ds_load_b128 v[40:43], v78 offset:2304
	;; [unrolled: 1-line block ×11, first 2 shown]
	v_cmp_gt_u32_e64 s1, 36, v72
	s_delay_alu instid0(VALU_DEP_1)
	s_and_saveexec_b32 s2, s1
	s_cbranch_execz .LBB0_21
; %bb.20:
	ds_load_b128 v[8:11], v78 offset:1728
	ds_load_b128 v[79:82], v78 offset:4032
	;; [unrolled: 1-line block ×6, first 2 shown]
	s_waitcnt lgkmcnt(4)
	v_dual_mov_b32 v68, v81 :: v_dual_mov_b32 v69, v82
	v_dual_mov_b32 v70, v79 :: v_dual_mov_b32 v71, v80
.LBB0_21:
	s_or_b32 exec_lo, exec_lo, s2
	v_and_b32_e32 v76, 0xff, v72
	s_mov_b32 s2, 0xe8584caa
	s_mov_b32 s3, 0x3febb67a
	;; [unrolled: 1-line block ×4, first 2 shown]
	v_mul_lo_u16 v73, 0xab, v76
	s_delay_alu instid0(VALU_DEP_1) | instskip(NEXT) | instid1(VALU_DEP_1)
	v_lshrrev_b16 v80, 9, v73
	v_mul_lo_u16 v73, v80, 3
	s_delay_alu instid0(VALU_DEP_1) | instskip(NEXT) | instid1(VALU_DEP_1)
	v_sub_nc_u16 v73, v72, v73
	v_and_b32_e32 v77, 0xff, v73
	v_add_nc_u32_e32 v73, 54, v72
	s_delay_alu instid0(VALU_DEP_2) | instskip(NEXT) | instid1(VALU_DEP_1)
	v_mul_u32_u24_e32 v79, 5, v77
	v_lshlrev_b32_e32 v121, 4, v79
	s_delay_alu instid0(VALU_DEP_3) | instskip(SKIP_4) | instid1(VALU_DEP_1)
	v_and_b32_e32 v79, 0xff, v73
	s_clause 0x1
	global_load_b128 v[85:88], v121, s[4:5] offset:32
	global_load_b128 v[89:92], v121, s[4:5] offset:64
	v_mul_lo_u16 v79, 0xab, v79
	v_lshrrev_b16 v84, 9, v79
	s_delay_alu instid0(VALU_DEP_1) | instskip(NEXT) | instid1(VALU_DEP_1)
	v_mul_lo_u16 v79, v84, 3
	v_sub_nc_u16 v79, v73, v79
	s_delay_alu instid0(VALU_DEP_1) | instskip(NEXT) | instid1(VALU_DEP_1)
	v_and_b32_e32 v83, 0xff, v79
	v_mul_u32_u24_e32 v79, 5, v83
	s_delay_alu instid0(VALU_DEP_1)
	v_lshlrev_b32_e32 v135, 4, v79
	v_add_nc_u32_e32 v79, 0x6c, v72
	s_clause 0x1
	global_load_b128 v[93:96], v135, s[4:5] offset:32
	global_load_b128 v[97:100], v135, s[4:5] offset:64
	v_and_b32_e32 v81, 0xff, v79
	s_delay_alu instid0(VALU_DEP_1) | instskip(NEXT) | instid1(VALU_DEP_1)
	v_mul_lo_u16 v81, 0xab, v81
	v_lshrrev_b16 v81, 9, v81
	s_delay_alu instid0(VALU_DEP_1) | instskip(NEXT) | instid1(VALU_DEP_1)
	v_mul_lo_u16 v82, v81, 3
	v_sub_nc_u16 v82, v79, v82
	s_delay_alu instid0(VALU_DEP_1) | instskip(NEXT) | instid1(VALU_DEP_1)
	v_and_b32_e32 v82, 0xff, v82
	v_mul_u32_u24_e32 v101, 5, v82
	s_delay_alu instid0(VALU_DEP_1)
	v_lshlrev_b32_e32 v136, 4, v101
	s_clause 0x5
	global_load_b128 v[101:104], v136, s[4:5] offset:32
	global_load_b128 v[105:108], v136, s[4:5] offset:64
	;; [unrolled: 1-line block ×3, first 2 shown]
	global_load_b128 v[113:116], v121, s[4:5]
	global_load_b128 v[117:120], v135, s[4:5]
	global_load_b128 v[121:124], v121, s[4:5] offset:16
	s_waitcnt vmcnt(9) lgkmcnt(5)
	v_mul_f64 v[125:126], v[66:67], v[87:88]
	v_mul_f64 v[87:88], v[64:65], v[87:88]
	s_waitcnt vmcnt(8) lgkmcnt(1)
	v_mul_f64 v[127:128], v[62:63], v[91:92]
	v_mul_f64 v[91:92], v[60:61], v[91:92]
	s_waitcnt vmcnt(7)
	v_mul_f64 v[129:130], v[58:59], v[95:96]
	v_fma_f64 v[125:126], v[64:65], v[85:86], -v[125:126]
	v_fma_f64 v[131:132], v[66:67], v[85:86], v[87:88]
	global_load_b128 v[64:67], v136, s[4:5]
	v_mul_f64 v[95:96], v[56:57], v[95:96]
	v_fma_f64 v[127:128], v[60:61], v[89:90], -v[127:128]
	v_fma_f64 v[133:134], v[62:63], v[89:90], v[91:92]
	s_clause 0x2
	global_load_b128 v[60:63], v135, s[4:5] offset:16
	global_load_b128 v[85:88], v135, s[4:5] offset:48
	;; [unrolled: 1-line block ×3, first 2 shown]
	v_fma_f64 v[129:130], v[56:57], v[93:94], -v[129:130]
	v_fma_f64 v[93:94], v[58:59], v[93:94], v[95:96]
	global_load_b128 v[56:59], v136, s[4:5] offset:16
	s_waitcnt vmcnt(11) lgkmcnt(0)
	v_mul_f64 v[95:96], v[54:55], v[99:100]
	v_mul_f64 v[99:100], v[52:53], v[99:100]
	s_waitcnt vmcnt(0)
	s_barrier
	buffer_gl0_inv
	v_fma_f64 v[95:96], v[52:53], v[97:98], -v[95:96]
	v_fma_f64 v[54:55], v[54:55], v[97:98], v[99:100]
	v_mul_f64 v[52:53], v[46:47], v[103:104]
	v_mul_f64 v[97:98], v[44:45], v[103:104]
	;; [unrolled: 1-line block ×5, first 2 shown]
	v_fma_f64 v[44:45], v[44:45], v[101:102], -v[52:53]
	v_fma_f64 v[52:53], v[46:47], v[101:102], v[97:98]
	v_mul_f64 v[97:98], v[42:43], v[115:116]
	v_mul_f64 v[101:102], v[40:41], v[115:116]
	;; [unrolled: 1-line block ×3, first 2 shown]
	v_fma_f64 v[46:47], v[48:49], v[105:106], -v[99:100]
	v_fma_f64 v[48:49], v[50:51], v[105:106], v[103:104]
	v_mul_f64 v[50:51], v[34:35], v[119:120]
	v_mul_f64 v[99:100], v[32:33], v[119:120]
	v_fma_f64 v[36:37], v[36:37], v[121:122], -v[107:108]
	v_add_f64 v[119:120], v[93:94], v[54:55]
	v_fma_f64 v[40:41], v[40:41], v[113:114], -v[97:98]
	v_fma_f64 v[42:43], v[42:43], v[113:114], v[101:102]
	v_mul_f64 v[97:98], v[30:31], v[111:112]
	v_mul_f64 v[101:102], v[28:29], v[111:112]
	v_fma_f64 v[38:39], v[38:39], v[121:122], v[115:116]
	v_add_f64 v[111:112], v[131:132], v[133:134]
	v_add_f64 v[113:114], v[125:126], v[127:128]
	v_fma_f64 v[50:51], v[32:33], v[117:118], -v[50:51]
	v_fma_f64 v[99:100], v[34:35], v[117:118], v[99:100]
	v_add_f64 v[121:122], v[129:130], v[95:96]
	v_fma_f64 v[28:29], v[28:29], v[109:110], -v[97:98]
	v_fma_f64 v[30:31], v[30:31], v[109:110], v[101:102]
	v_add_f64 v[97:98], v[131:132], -v[133:134]
	v_fma_f64 v[101:102], v[111:112], -0.5, v[42:43]
	v_add_f64 v[42:43], v[42:43], v[131:132]
	s_delay_alu instid0(VALU_DEP_1)
	v_add_f64 v[133:134], v[42:43], v[133:134]
	v_mul_f64 v[103:104], v[68:69], v[66:67]
	v_mul_f64 v[66:67], v[70:71], v[66:67]
	;; [unrolled: 1-line block ×7, first 2 shown]
	v_fma_f64 v[32:33], v[70:71], v[64:65], -v[103:104]
	v_mul_f64 v[70:71], v[4:5], v[91:92]
	v_mul_f64 v[117:118], v[2:3], v[58:59]
	v_fma_f64 v[34:35], v[68:69], v[64:65], v[66:67]
	v_mul_f64 v[58:59], v[0:1], v[58:59]
	v_add_f64 v[64:65], v[52:53], v[48:49]
	v_add_f64 v[66:67], v[44:45], v[46:47]
	v_fma_f64 v[68:69], v[20:21], v[60:61], -v[105:106]
	v_add_f64 v[91:92], v[125:126], -v[127:128]
	v_fma_f64 v[103:104], v[113:114], -0.5, v[40:41]
	v_fma_f64 v[105:106], v[24:25], v[85:86], -v[107:108]
	v_fma_f64 v[60:61], v[22:23], v[60:61], v[62:63]
	v_fma_f64 v[62:63], v[26:27], v[85:86], v[87:88]
	v_fma_f64 v[20:21], v[4:5], v[89:90], -v[115:116]
	v_add_f64 v[4:5], v[129:130], -v[95:96]
	v_add_f64 v[85:86], v[93:94], -v[54:55]
	v_fma_f64 v[87:88], v[119:120], -0.5, v[99:100]
	v_fma_f64 v[107:108], v[121:122], -0.5, v[50:51]
	v_add_f64 v[40:41], v[40:41], v[125:126]
	v_add_f64 v[50:51], v[50:51], v[129:130]
	;; [unrolled: 1-line block ×3, first 2 shown]
	v_fma_f64 v[22:23], v[6:7], v[89:90], v[70:71]
	v_fma_f64 v[24:25], v[0:1], v[56:57], -v[117:118]
	v_add_f64 v[0:1], v[52:53], -v[48:49]
	v_fma_f64 v[26:27], v[2:3], v[56:57], v[58:59]
	v_add_f64 v[2:3], v[44:45], -v[46:47]
	v_fma_f64 v[6:7], v[64:65], -0.5, v[34:35]
	v_fma_f64 v[56:57], v[66:67], -0.5, v[32:33]
	v_add_f64 v[58:59], v[36:37], v[28:29]
	v_add_f64 v[64:65], v[38:39], v[30:31]
	v_fma_f64 v[66:67], v[91:92], s[6:7], v[101:102]
	v_fma_f64 v[70:71], v[97:98], s[2:3], v[103:104]
	v_add_f64 v[89:90], v[68:69], v[105:106]
	v_fma_f64 v[97:98], v[97:98], s[6:7], v[103:104]
	v_fma_f64 v[91:92], v[91:92], s[2:3], v[101:102]
	;; [unrolled: 3-line block ×3, first 2 shown]
	v_fma_f64 v[85:86], v[85:86], s[6:7], v[107:108]
	v_fma_f64 v[4:5], v[4:5], s[2:3], v[87:88]
	v_add_f64 v[107:108], v[16:17], v[36:37]
	v_add_f64 v[117:118], v[14:15], v[60:61]
	v_add_f64 v[36:37], v[36:37], -v[28:29]
	v_add_f64 v[127:128], v[40:41], v[127:128]
	v_add_f64 v[50:51], v[50:51], v[95:96]
	;; [unrolled: 1-line block ×4, first 2 shown]
	v_add_f64 v[123:124], v[24:25], -v[20:21]
	v_add_f64 v[87:88], v[26:27], v[22:23]
	v_fma_f64 v[113:114], v[2:3], s[6:7], v[6:7]
	v_fma_f64 v[115:116], v[0:1], s[6:7], v[56:57]
	;; [unrolled: 1-line block ×4, first 2 shown]
	v_add_f64 v[6:7], v[18:19], v[38:39]
	v_add_f64 v[38:39], v[38:39], -v[30:31]
	v_add_f64 v[56:57], v[12:13], v[68:69]
	v_fma_f64 v[16:17], v[58:59], -0.5, v[16:17]
	v_fma_f64 v[18:19], v[64:65], -0.5, v[18:19]
	v_add_f64 v[58:59], v[60:61], -v[62:63]
	v_mul_f64 v[60:61], v[66:67], s[2:3]
	v_fma_f64 v[12:13], v[89:90], -0.5, v[12:13]
	v_add_f64 v[68:69], v[68:69], -v[105:106]
	v_mul_f64 v[99:100], v[91:92], -0.5
	v_fma_f64 v[14:15], v[101:102], -0.5, v[14:15]
	v_add_f64 v[101:102], v[26:27], -v[22:23]
	v_mul_f64 v[119:120], v[103:104], s[2:3]
	v_mul_f64 v[125:126], v[85:86], -0.5
	v_mul_f64 v[64:65], v[70:71], s[6:7]
	v_mul_f64 v[89:90], v[97:98], -0.5
	;; [unrolled: 2-line block ×3, first 2 shown]
	v_add_f64 v[107:108], v[107:108], v[28:29]
	v_add_f64 v[117:118], v[117:118], v[62:63]
	v_fma_f64 v[111:112], v[111:112], -0.5, v[8:9]
	v_fma_f64 v[87:88], v[87:88], -0.5, v[10:11]
	v_mul_f64 v[131:132], v[113:114], s[2:3]
	v_mul_f64 v[135:136], v[115:116], -0.5
	v_mul_f64 v[137:138], v[0:1], s[6:7]
	v_mul_f64 v[139:140], v[2:3], -0.5
	v_add_f64 v[6:7], v[6:7], v[30:31]
	v_add_f64 v[105:106], v[56:57], v[105:106]
	v_fma_f64 v[95:96], v[38:39], s[2:3], v[16:17]
	v_fma_f64 v[141:142], v[38:39], s[6:7], v[16:17]
	;; [unrolled: 1-line block ×4, first 2 shown]
	v_fma_f64 v[70:71], v[70:71], 0.5, v[60:61]
	v_fma_f64 v[149:150], v[58:59], s[2:3], v[12:13]
	v_fma_f64 v[151:152], v[58:59], s[6:7], v[12:13]
	;; [unrolled: 1-line block ×5, first 2 shown]
	v_fma_f64 v[109:110], v[109:110], 0.5, v[119:120]
	v_fma_f64 v[4:5], v[4:5], s[2:3], v[125:126]
	v_fma_f64 v[147:148], v[66:67], 0.5, v[64:65]
	v_fma_f64 v[153:154], v[91:92], s[2:3], v[89:90]
	v_fma_f64 v[103:104], v[103:104], 0.5, v[121:122]
	v_add_f64 v[40:41], v[107:108], v[127:128]
	v_add_f64 v[54:55], v[107:108], -v[127:128]
	v_add_f64 v[60:61], v[117:118], v[93:94]
	v_add_f64 v[64:65], v[117:118], -v[93:94]
	v_fma_f64 v[12:13], v[101:102], s[2:3], v[111:112]
	v_fma_f64 v[16:17], v[101:102], s[6:7], v[111:112]
	;; [unrolled: 1-line block ×4, first 2 shown]
	v_fma_f64 v[14:15], v[0:1], 0.5, v[131:132]
	v_fma_f64 v[18:19], v[2:3], s[2:3], v[135:136]
	v_fma_f64 v[36:37], v[113:114], 0.5, v[137:138]
	v_fma_f64 v[38:39], v[115:116], s[6:7], v[139:140]
	v_fma_f64 v[111:112], v[85:86], s[6:7], v[129:130]
	v_add_f64 v[42:43], v[6:7], v[133:134]
	v_add_f64 v[56:57], v[6:7], -v[133:134]
	v_add_f64 v[58:59], v[105:106], v[50:51]
	v_add_f64 v[62:63], v[105:106], -v[50:51]
	v_and_b32_e32 v50, 0xffff, v80
	v_and_b32_e32 v51, 0xffff, v84
	v_add_f64 v[66:67], v[95:96], v[70:71]
	v_add_f64 v[85:86], v[95:96], -v[70:71]
	v_lshlrev_b32_e32 v70, 4, v77
	v_add_f64 v[91:92], v[145:146], v[97:98]
	v_add_f64 v[95:96], v[145:146], -v[97:98]
	v_mul_u32_u24_e32 v50, 0x120, v50
	v_add_f64 v[97:98], v[149:150], v[109:110]
	v_add_f64 v[101:102], v[149:150], -v[109:110]
	v_add_f64 v[105:106], v[151:152], v[4:5]
	v_add_f64 v[109:110], v[151:152], -v[4:5]
	v_add_f64 v[68:69], v[143:144], v[147:148]
	v_add_f64 v[89:90], v[141:142], v[153:154]
	v_add_f64 v[87:88], v[143:144], -v[147:148]
	v_add_f64 v[93:94], v[141:142], -v[153:154]
	v_add_f64 v[99:100], v[155:156], v[103:104]
	v_add_f64 v[103:104], v[155:156], -v[103:104]
	v_mul_u32_u24_e32 v51, 0x120, v51
	v_lshlrev_b32_e32 v71, 4, v83
	v_add3_u32 v50, 0, v50, v70
	s_delay_alu instid0(VALU_DEP_2)
	v_add3_u32 v51, 0, v51, v71
	v_add_f64 v[0:1], v[12:13], -v[14:15]
	v_add_f64 v[4:5], v[16:17], -v[18:19]
	;; [unrolled: 1-line block ×4, first 2 shown]
	v_add_f64 v[107:108], v[157:158], v[111:112]
	v_add_f64 v[111:112], v[157:158], -v[111:112]
	ds_store_b128 v50, v[40:43]
	ds_store_b128 v50, v[66:69] offset:48
	ds_store_b128 v50, v[89:92] offset:96
	;; [unrolled: 1-line block ×5, first 2 shown]
	ds_store_b128 v51, v[58:61]
	ds_store_b128 v51, v[97:100] offset:48
	ds_store_b128 v51, v[105:108] offset:96
	;; [unrolled: 1-line block ×5, first 2 shown]
	s_and_saveexec_b32 s2, s1
	s_cbranch_execz .LBB0_23
; %bb.22:
	v_add_f64 v[10:11], v[10:11], v[26:27]
	v_add_f64 v[26:27], v[34:35], v[52:53]
	;; [unrolled: 1-line block ×4, first 2 shown]
	s_delay_alu instid0(VALU_DEP_4) | instskip(NEXT) | instid1(VALU_DEP_4)
	v_add_f64 v[32:33], v[10:11], v[22:23]
	v_add_f64 v[26:27], v[26:27], v[48:49]
	s_delay_alu instid0(VALU_DEP_4) | instskip(NEXT) | instid1(VALU_DEP_4)
	v_add_f64 v[34:35], v[8:9], v[20:21]
	v_add_f64 v[40:41], v[24:25], v[46:47]
	;; [unrolled: 1-line block ×6, first 2 shown]
	v_and_b32_e32 v16, 0xffff, v81
	v_lshlrev_b32_e32 v17, 4, v82
	s_delay_alu instid0(VALU_DEP_2) | instskip(NEXT) | instid1(VALU_DEP_1)
	v_mul_u32_u24_e32 v16, 0x120, v16
	v_add3_u32 v16, 0, v16, v17
	v_add_f64 v[24:25], v[32:33], v[26:27]
	v_add_f64 v[14:15], v[32:33], -v[26:27]
	v_add_f64 v[22:23], v[34:35], v[40:41]
	v_add_f64 v[12:13], v[34:35], -v[40:41]
	ds_store_b128 v16, v[22:25]
	ds_store_b128 v16, v[18:21] offset:48
	ds_store_b128 v16, v[8:11] offset:96
	;; [unrolled: 1-line block ×5, first 2 shown]
.LBB0_23:
	s_or_b32 exec_lo, exec_lo, s2
	v_mul_lo_u16 v8, v76, 57
	s_waitcnt lgkmcnt(0)
	s_barrier
	buffer_gl0_inv
	s_mov_b32 s2, 0x667f3bcd
	v_lshrrev_b16 v12, 10, v8
	s_mov_b32 s3, 0xbfe6a09e
	s_mov_b32 s7, 0x3fe6a09e
	;; [unrolled: 1-line block ×4, first 2 shown]
	v_mul_lo_u16 v8, v12, 18
	s_mov_b32 s11, 0xbfed906b
	s_mov_b32 s17, 0x3fed906b
	;; [unrolled: 1-line block ×4, first 2 shown]
	v_sub_nc_u16 v8, v72, v8
	s_mov_b32 s13, 0xbfd87de2
	s_mov_b32 s15, 0x3fd87de2
	s_mov_b32 s14, s12
	v_and_b32_e32 v12, 0xffff, v12
	v_and_b32_e32 v13, 0xff, v8
	s_delay_alu instid0(VALU_DEP_2) | instskip(NEXT) | instid1(VALU_DEP_2)
	v_mul_u32_u24_e32 v12, 0x120, v12
	v_mul_u32_u24_e32 v8, 15, v13
	s_delay_alu instid0(VALU_DEP_2) | instskip(NEXT) | instid1(VALU_DEP_2)
	v_or_b32_e32 v12, v12, v13
	v_lshlrev_b32_e32 v66, 4, v8
	s_clause 0xe
	global_load_b128 v[8:11], v66, s[4:5] offset:240
	global_load_b128 v[14:17], v66, s[4:5] offset:256
	global_load_b128 v[18:21], v66, s[4:5] offset:272
	global_load_b128 v[22:25], v66, s[4:5] offset:288
	global_load_b128 v[26:29], v66, s[4:5] offset:304
	global_load_b128 v[30:33], v66, s[4:5] offset:320
	global_load_b128 v[34:37], v66, s[4:5] offset:336
	global_load_b128 v[38:41], v66, s[4:5] offset:352
	global_load_b128 v[42:45], v66, s[4:5] offset:416
	global_load_b128 v[46:49], v66, s[4:5] offset:384
	global_load_b128 v[50:53], v66, s[4:5] offset:368
	global_load_b128 v[54:57], v66, s[4:5] offset:448
	global_load_b128 v[58:61], v66, s[4:5] offset:400
	global_load_b128 v[62:65], v66, s[4:5] offset:432
	global_load_b128 v[66:69], v66, s[4:5] offset:464
	ds_load_b128 v[80:83], v78 offset:864
	ds_load_b128 v[84:87], v78 offset:1728
	;; [unrolled: 1-line block ×4, first 2 shown]
	ds_load_b128 v[96:99], v78
	ds_load_b128 v[100:103], v78 offset:4320
	ds_load_b128 v[104:107], v78 offset:5184
	ds_load_b128 v[108:111], v78 offset:6048
	ds_load_b128 v[112:115], v78 offset:6912
	ds_load_b128 v[116:119], v78 offset:10368
	ds_load_b128 v[120:123], v78 offset:8640
	v_lshl_add_u32 v12, v12, 4, 0
	s_waitcnt vmcnt(14) lgkmcnt(10)
	v_mul_f64 v[70:71], v[82:83], v[10:11]
	v_mul_f64 v[10:11], v[80:81], v[10:11]
	s_waitcnt vmcnt(13) lgkmcnt(9)
	v_mul_f64 v[76:77], v[86:87], v[16:17]
	v_mul_f64 v[16:17], v[84:85], v[16:17]
	;; [unrolled: 3-line block ×7, first 2 shown]
	s_waitcnt vmcnt(6) lgkmcnt(1)
	v_mul_f64 v[138:139], v[118:119], v[44:45]
	v_fma_f64 v[70:71], v[80:81], v[8:9], -v[70:71]
	v_fma_f64 v[134:135], v[82:83], v[8:9], v[10:11]
	ds_load_b128 v[8:11], v78 offset:7776
	ds_load_b128 v[80:83], v78 offset:12096
	v_fma_f64 v[76:77], v[84:85], v[14:15], -v[76:77]
	v_fma_f64 v[136:137], v[86:87], v[14:15], v[16:17]
	ds_load_b128 v[14:17], v78 offset:9504
	ds_load_b128 v[84:87], v78 offset:11232
	v_fma_f64 v[88:89], v[88:89], v[18:19], -v[124:125]
	v_fma_f64 v[90:91], v[90:91], v[18:19], v[20:21]
	ds_load_b128 v[18:21], v78 offset:12960
	v_mul_f64 v[124:125], v[114:115], v[40:41]
	v_mul_f64 v[40:41], v[112:113], v[40:41]
	v_fma_f64 v[92:93], v[92:93], v[22:23], -v[126:127]
	v_fma_f64 v[22:23], v[94:95], v[22:23], v[24:25]
	v_mul_f64 v[24:25], v[116:117], v[44:45]
	s_waitcnt vmcnt(5) lgkmcnt(5)
	v_mul_f64 v[44:45], v[122:123], v[48:49]
	v_mul_f64 v[48:49], v[120:121], v[48:49]
	v_fma_f64 v[100:101], v[100:101], v[26:27], -v[128:129]
	v_fma_f64 v[26:27], v[102:103], v[26:27], v[28:29]
	v_fma_f64 v[104:105], v[104:105], v[30:31], -v[130:131]
	v_fma_f64 v[30:31], v[106:107], v[30:31], v[32:33]
	v_fma_f64 v[108:109], v[108:109], v[34:35], -v[132:133]
	s_waitcnt vmcnt(4) lgkmcnt(4)
	v_mul_f64 v[94:95], v[10:11], v[52:53]
	v_mul_f64 v[28:29], v[8:9], v[52:53]
	s_waitcnt vmcnt(3) lgkmcnt(3)
	v_mul_f64 v[52:53], v[82:83], v[56:57]
	v_mul_f64 v[56:57], v[80:81], v[56:57]
	s_waitcnt vmcnt(2) lgkmcnt(2)
	v_mul_f64 v[102:103], v[16:17], v[60:61]
	s_waitcnt vmcnt(1) lgkmcnt(1)
	v_mul_f64 v[32:33], v[86:87], v[64:65]
	v_mul_f64 v[64:65], v[84:85], v[64:65]
	;; [unrolled: 1-line block ×3, first 2 shown]
	s_waitcnt vmcnt(0) lgkmcnt(0)
	v_mul_f64 v[106:107], v[18:19], v[68:69]
	v_fma_f64 v[34:35], v[110:111], v[34:35], v[36:37]
	v_mul_f64 v[36:37], v[20:21], v[68:69]
	s_barrier
	buffer_gl0_inv
	v_fma_f64 v[68:69], v[112:113], v[38:39], -v[124:125]
	v_fma_f64 v[38:39], v[114:115], v[38:39], v[40:41]
	v_fma_f64 v[40:41], v[116:117], v[42:43], -v[138:139]
	v_fma_f64 v[24:25], v[118:119], v[42:43], v[24:25]
	v_fma_f64 v[42:43], v[120:121], v[46:47], -v[44:45]
	v_fma_f64 v[44:45], v[122:123], v[46:47], v[48:49]
	v_fma_f64 v[8:9], v[8:9], v[50:51], -v[94:95]
	v_fma_f64 v[10:11], v[10:11], v[50:51], v[28:29]
	v_fma_f64 v[46:47], v[80:81], v[54:55], -v[52:53]
	v_fma_f64 v[48:49], v[82:83], v[54:55], v[56:57]
	v_fma_f64 v[14:15], v[14:15], v[58:59], -v[102:103]
	v_fma_f64 v[28:29], v[84:85], v[62:63], -v[32:33]
	v_fma_f64 v[32:33], v[86:87], v[62:63], v[64:65]
	v_fma_f64 v[16:17], v[16:17], v[58:59], v[60:61]
	;; [unrolled: 1-line block ×3, first 2 shown]
	v_fma_f64 v[18:19], v[18:19], v[66:67], -v[36:37]
	v_add_f64 v[36:37], v[96:97], -v[68:69]
	v_add_f64 v[38:39], v[98:99], -v[38:39]
	;; [unrolled: 1-line block ×16, first 2 shown]
	v_fma_f64 v[66:67], v[96:97], 2.0, -v[36:37]
	v_fma_f64 v[68:69], v[98:99], 2.0, -v[38:39]
	v_add_f64 v[52:53], v[38:39], v[40:41]
	v_fma_f64 v[40:41], v[92:93], 2.0, -v[40:41]
	v_add_f64 v[50:51], v[36:37], -v[24:25]
	v_fma_f64 v[22:23], v[22:23], 2.0, -v[24:25]
	v_fma_f64 v[24:25], v[76:77], 2.0, -v[42:43]
	;; [unrolled: 1-line block ×3, first 2 shown]
	v_add_f64 v[56:57], v[44:45], v[46:47]
	v_add_f64 v[54:55], v[42:43], -v[48:49]
	v_fma_f64 v[46:47], v[104:105], 2.0, -v[46:47]
	v_add_f64 v[60:61], v[10:11], v[28:29]
	v_add_f64 v[58:59], v[8:9], -v[32:33]
	v_fma_f64 v[30:31], v[30:31], 2.0, -v[48:49]
	v_add_f64 v[62:63], v[14:15], -v[20:21]
	v_fma_f64 v[48:49], v[70:71], 2.0, -v[8:9]
	v_add_f64 v[64:65], v[16:17], v[18:19]
	v_fma_f64 v[70:71], v[134:135], 2.0, -v[10:11]
	v_fma_f64 v[28:29], v[100:101], 2.0, -v[28:29]
	;; [unrolled: 1-line block ×7, first 2 shown]
	v_add_f64 v[40:41], v[66:67], -v[40:41]
	v_fma_f64 v[34:35], v[36:37], 2.0, -v[50:51]
	v_fma_f64 v[36:37], v[38:39], 2.0, -v[52:53]
	v_add_f64 v[22:23], v[68:69], -v[22:23]
	v_fma_f64 v[82:83], v[56:57], s[6:7], v[52:53]
	v_fma_f64 v[38:39], v[42:43], 2.0, -v[54:55]
	v_fma_f64 v[42:43], v[44:45], 2.0, -v[56:57]
	;; [unrolled: 1-line block ×4, first 2 shown]
	v_add_f64 v[44:45], v[24:25], -v[46:47]
	v_fma_f64 v[14:15], v[14:15], 2.0, -v[62:63]
	v_add_f64 v[30:31], v[76:77], -v[30:31]
	v_fma_f64 v[16:17], v[16:17], 2.0, -v[64:65]
	v_fma_f64 v[46:47], v[54:55], s[6:7], v[50:51]
	v_add_f64 v[28:29], v[48:49], -v[28:29]
	v_add_f64 v[26:27], v[70:71], -v[26:27]
	v_fma_f64 v[84:85], v[62:63], s[6:7], v[58:59]
	v_fma_f64 v[86:87], v[64:65], s[6:7], v[60:61]
	v_add_f64 v[20:21], v[80:81], -v[20:21]
	v_add_f64 v[18:19], v[32:33], -v[18:19]
	v_fma_f64 v[66:67], v[66:67], 2.0, -v[40:41]
	v_fma_f64 v[68:69], v[68:69], 2.0, -v[22:23]
	v_fma_f64 v[54:55], v[54:55], s[6:7], v[82:83]
	v_fma_f64 v[88:89], v[38:39], s[2:3], v[34:35]
	;; [unrolled: 1-line block ×3, first 2 shown]
	v_fma_f64 v[24:25], v[24:25], 2.0, -v[44:45]
	v_fma_f64 v[92:93], v[14:15], s[2:3], v[8:9]
	v_fma_f64 v[76:77], v[76:77], 2.0, -v[30:31]
	v_fma_f64 v[94:95], v[16:17], s[2:3], v[10:11]
	v_add_f64 v[96:97], v[40:41], -v[30:31]
	v_add_f64 v[44:45], v[22:23], v[44:45]
	v_fma_f64 v[46:47], v[56:57], s[2:3], v[46:47]
	v_fma_f64 v[64:65], v[64:65], s[2:3], v[84:85]
	;; [unrolled: 1-line block ×3, first 2 shown]
	v_add_f64 v[30:31], v[28:29], -v[20:21]
	v_add_f64 v[56:57], v[26:27], v[18:19]
	v_fma_f64 v[48:49], v[48:49], 2.0, -v[28:29]
	v_fma_f64 v[70:71], v[70:71], 2.0, -v[26:27]
	;; [unrolled: 1-line block ×4, first 2 shown]
	v_fma_f64 v[80:81], v[42:43], s[2:3], v[88:89]
	v_fma_f64 v[82:83], v[38:39], s[6:7], v[90:91]
	v_add_f64 v[84:85], v[66:67], -v[24:25]
	v_fma_f64 v[32:33], v[16:17], s[2:3], v[92:93]
	v_fma_f64 v[92:93], v[52:53], 2.0, -v[54:55]
	v_fma_f64 v[38:39], v[14:15], s[6:7], v[94:95]
	v_fma_f64 v[86:87], v[40:41], 2.0, -v[96:97]
	v_fma_f64 v[88:89], v[22:23], 2.0, -v[44:45]
	;; [unrolled: 1-line block ×3, first 2 shown]
	v_add_f64 v[76:77], v[68:69], -v[76:77]
	v_fma_f64 v[24:25], v[28:29], 2.0, -v[30:31]
	v_fma_f64 v[22:23], v[26:27], 2.0, -v[56:57]
	;; [unrolled: 1-line block ×4, first 2 shown]
	v_add_f64 v[40:41], v[48:49], -v[18:19]
	v_add_f64 v[18:19], v[70:71], -v[20:21]
	v_fma_f64 v[20:21], v[64:65], s[16:17], v[46:47]
	v_fma_f64 v[94:95], v[34:35], 2.0, -v[80:81]
	v_fma_f64 v[98:99], v[36:37], 2.0, -v[82:83]
	v_fma_f64 v[34:35], v[62:63], s[16:17], v[54:55]
	v_fma_f64 v[66:67], v[66:67], 2.0, -v[84:85]
	v_fma_f64 v[42:43], v[8:9], 2.0, -v[32:33]
	v_fma_f64 v[8:9], v[30:31], s[6:7], v[96:97]
	v_fma_f64 v[50:51], v[10:11], 2.0, -v[38:39]
	v_fma_f64 v[10:11], v[56:57], s[6:7], v[44:45]
	v_fma_f64 v[100:101], v[32:33], s[14:15], v[80:81]
	;; [unrolled: 1-line block ×3, first 2 shown]
	v_fma_f64 v[68:69], v[68:69], 2.0, -v[76:77]
	v_fma_f64 v[36:37], v[24:25], s[2:3], v[86:87]
	v_fma_f64 v[52:53], v[22:23], s[2:3], v[88:89]
	;; [unrolled: 1-line block ×4, first 2 shown]
	v_fma_f64 v[48:49], v[48:49], 2.0, -v[40:41]
	v_fma_f64 v[70:71], v[70:71], 2.0, -v[18:19]
	v_add_f64 v[18:19], v[84:85], -v[18:19]
	v_fma_f64 v[104:105], v[42:43], s[10:11], v[94:95]
	v_fma_f64 v[14:15], v[56:57], s[2:3], v[8:9]
	;; [unrolled: 1-line block ×6, first 2 shown]
	v_add_f64 v[20:21], v[76:77], v[40:41]
	v_fma_f64 v[30:31], v[38:39], s[10:11], v[100:101]
	v_fma_f64 v[22:23], v[22:23], s[2:3], v[36:37]
	;; [unrolled: 1-line block ×6, first 2 shown]
	v_add_f64 v[34:35], v[66:67], -v[48:49]
	v_add_f64 v[36:37], v[68:69], -v[70:71]
	v_fma_f64 v[38:39], v[50:51], s[12:13], v[104:105]
	v_fma_f64 v[50:51], v[84:85], 2.0, -v[18:19]
	v_fma_f64 v[40:41], v[42:43], s[14:15], v[106:107]
	v_fma_f64 v[42:43], v[96:97], 2.0, -v[14:15]
	v_fma_f64 v[44:45], v[44:45], 2.0, -v[16:17]
	;; [unrolled: 1-line block ×15, first 2 shown]
	ds_store_b128 v12, v[14:17] offset:4032
	ds_store_b128 v12, v[8:11] offset:4320
	;; [unrolled: 1-line block ×14, first 2 shown]
	ds_store_b128 v12, v[66:69]
	ds_store_b128 v12, v[80:83] offset:288
	s_waitcnt lgkmcnt(0)
	s_barrier
	buffer_gl0_inv
	ds_load_b128 v[16:19], v78
	ds_load_b128 v[12:15], v78 offset:864
	ds_load_b128 v[44:47], v78 offset:9216
	;; [unrolled: 1-line block ×14, first 2 shown]
	s_and_saveexec_b32 s1, s0
	s_cbranch_execz .LBB0_25
; %bb.24:
	ds_load_b128 v[8:11], v78 offset:4320
	ds_load_b128 v[0:3], v78 offset:8928
	;; [unrolled: 1-line block ×3, first 2 shown]
.LBB0_25:
	s_or_b32 exec_lo, exec_lo, s1
	v_dual_mov_b32 v77, 0 :: v_dual_lshlrev_b32 v76, 1, v72
	v_lshlrev_b32_e32 v82, 1, v73
	v_lshlrev_b32_e32 v87, 1, v79
	s_mov_b32 s2, 0xe8584caa
	s_delay_alu instid0(VALU_DEP_3)
	v_dual_mov_b32 v96, v77 :: v_dual_add_nc_u32 v95, 0x144, v76
	v_lshlrev_b64 v[80:81], 4, v[76:77]
	v_mov_b32_e32 v83, v77
	v_mov_b32_e32 v88, v77
	v_add_nc_u32_e32 v76, 0x1b0, v76
	v_lshlrev_b64 v[95:96], 4, v[95:96]
	s_mov_b32 s3, 0x3febb67a
	v_add_co_u32 v73, s1, s4, v80
	s_delay_alu instid0(VALU_DEP_1) | instskip(SKIP_1) | instid1(VALU_DEP_3)
	v_add_co_ci_u32_e64 v85, s1, s5, v81, s1
	v_lshlrev_b64 v[89:90], 4, v[82:83]
	v_add_co_u32 v80, s1, 0x1000, v73
	s_delay_alu instid0(VALU_DEP_1) | instskip(SKIP_1) | instid1(VALU_DEP_1)
	v_add_co_ci_u32_e64 v81, s1, 0, v85, s1
	v_add_co_u32 v84, s1, 0x11d0, v73
	v_add_co_ci_u32_e64 v85, s1, 0, v85, s1
	v_add_co_u32 v73, s1, s4, v89
	s_delay_alu instid0(VALU_DEP_1)
	v_add_co_ci_u32_e64 v92, s1, s5, v90, s1
	s_clause 0x1
	global_load_b128 v[79:82], v[80:81], off offset:464
	global_load_b128 v[83:86], v[84:85], off offset:16
	v_lshlrev_b64 v[87:88], 4, v[87:88]
	v_add_co_u32 v89, s1, 0x1000, v73
	s_delay_alu instid0(VALU_DEP_1) | instskip(SKIP_1) | instid1(VALU_DEP_1)
	v_add_co_ci_u32_e64 v90, s1, 0, v92, s1
	v_add_co_u32 v91, s1, 0x11d0, v73
	v_add_co_ci_u32_e64 v92, s1, 0, v92, s1
	v_add_co_u32 v73, s1, s4, v87
	s_delay_alu instid0(VALU_DEP_1) | instskip(SKIP_1) | instid1(VALU_DEP_3)
	v_add_co_ci_u32_e64 v101, s1, s5, v88, s1
	v_lshlrev_b64 v[99:100], 4, v[76:77]
	v_add_co_u32 v97, s1, 0x1000, v73
	s_delay_alu instid0(VALU_DEP_1) | instskip(SKIP_1) | instid1(VALU_DEP_1)
	v_add_co_ci_u32_e64 v98, s1, 0, v101, s1
	v_add_co_u32 v76, s1, s4, v95
	v_add_co_ci_u32_e64 v95, s1, s5, v96, s1
	v_add_co_u32 v109, s1, s4, v99
	s_delay_alu instid0(VALU_DEP_1) | instskip(SKIP_1) | instid1(VALU_DEP_1)
	v_add_co_ci_u32_e64 v110, s1, s5, v100, s1
	v_add_co_u32 v99, s1, 0x11d0, v73
	v_add_co_ci_u32_e64 v100, s1, 0, v101, s1
	;; [unrolled: 5-line block ×3, first 2 shown]
	v_add_co_u32 v111, s1, 0x1000, v109
	s_clause 0x1
	global_load_b128 v[87:90], v[89:90], off offset:464
	global_load_b128 v[91:94], v[91:92], off offset:16
	v_add_co_ci_u32_e64 v112, s1, 0, v110, s1
	v_add_co_u32 v115, s1, 0x11d0, v109
	s_clause 0x1
	global_load_b128 v[95:98], v[97:98], off offset:464
	global_load_b128 v[99:102], v[99:100], off offset:16
	v_add_co_ci_u32_e64 v116, s1, 0, v110, s1
	s_clause 0x3
	global_load_b128 v[103:106], v[103:104], off offset:464
	global_load_b128 v[107:110], v[107:108], off offset:16
	;; [unrolled: 1-line block ×4, first 2 shown]
	s_mov_b32 s7, 0xbfebb67a
	s_mov_b32 s6, s2
	s_waitcnt vmcnt(0) lgkmcnt(0)
	s_barrier
	buffer_gl0_inv
	v_mul_f64 v[119:120], v[70:71], v[81:82]
	v_mul_f64 v[81:82], v[68:69], v[81:82]
	;; [unrolled: 1-line block ×4, first 2 shown]
	s_delay_alu instid0(VALU_DEP_4) | instskip(NEXT) | instid1(VALU_DEP_4)
	v_fma_f64 v[68:69], v[68:69], v[79:80], -v[119:120]
	v_fma_f64 v[70:71], v[70:71], v[79:80], v[81:82]
	s_delay_alu instid0(VALU_DEP_4)
	v_fma_f64 v[44:45], v[44:45], v[83:84], -v[121:122]
	v_mul_f64 v[123:124], v[50:51], v[89:90]
	v_mul_f64 v[89:90], v[48:49], v[89:90]
	;; [unrolled: 1-line block ×4, first 2 shown]
	v_fma_f64 v[46:47], v[46:47], v[83:84], v[85:86]
	v_mul_f64 v[127:128], v[38:39], v[97:98]
	v_mul_f64 v[97:98], v[36:37], v[97:98]
	;; [unrolled: 1-line block ×12, first 2 shown]
	v_fma_f64 v[48:49], v[48:49], v[87:88], -v[123:124]
	v_fma_f64 v[50:51], v[50:51], v[87:88], v[89:90]
	v_fma_f64 v[32:33], v[32:33], v[91:92], -v[125:126]
	v_fma_f64 v[34:35], v[34:35], v[91:92], v[93:94]
	;; [unrolled: 2-line block ×6, first 2 shown]
	v_fma_f64 v[52:53], v[52:53], v[111:112], -v[135:136]
	v_fma_f64 v[56:57], v[56:57], v[115:116], -v[79:80]
	v_fma_f64 v[54:55], v[54:55], v[111:112], v[81:82]
	v_fma_f64 v[58:59], v[58:59], v[115:116], v[113:114]
	v_add_f64 v[79:80], v[68:69], v[44:45]
	v_add_f64 v[81:82], v[70:71], v[46:47]
	;; [unrolled: 1-line block ×3, first 2 shown]
	v_add_f64 v[101:102], v[70:71], -v[46:47]
	v_add_f64 v[70:71], v[18:19], v[70:71]
	v_add_f64 v[68:69], v[68:69], -v[44:45]
	v_add_f64 v[103:104], v[12:13], v[48:49]
	v_add_f64 v[105:106], v[14:15], v[50:51]
	;; [unrolled: 1-line block ×4, first 2 shown]
	v_add_f64 v[50:51], v[50:51], -v[34:35]
	v_add_f64 v[107:108], v[28:29], v[36:37]
	v_add_f64 v[109:110], v[30:31], v[38:39]
	;; [unrolled: 1-line block ×12, first 2 shown]
	v_fma_f64 v[79:80], v[79:80], -0.5, v[16:17]
	v_fma_f64 v[81:82], v[81:82], -0.5, v[18:19]
	v_add_f64 v[48:49], v[48:49], -v[32:33]
	v_add_f64 v[119:120], v[38:39], -v[62:63]
	;; [unrolled: 1-line block ×7, first 2 shown]
	v_add_f64 v[16:17], v[103:104], v[32:33]
	v_add_f64 v[18:19], v[105:106], v[34:35]
	v_fma_f64 v[83:84], v[83:84], -0.5, v[12:13]
	v_fma_f64 v[85:86], v[85:86], -0.5, v[14:15]
	v_add_f64 v[12:13], v[99:100], v[44:45]
	v_add_f64 v[14:15], v[70:71], v[46:47]
	v_fma_f64 v[87:88], v[87:88], -0.5, v[28:29]
	v_fma_f64 v[89:90], v[89:90], -0.5, v[30:31]
	;; [unrolled: 1-line block ×4, first 2 shown]
	v_add_f64 v[20:21], v[107:108], v[60:61]
	v_fma_f64 v[95:96], v[95:96], -0.5, v[24:25]
	v_add_f64 v[22:23], v[109:110], v[62:63]
	v_fma_f64 v[97:98], v[97:98], -0.5, v[26:27]
	v_add_f64 v[24:25], v[111:112], v[40:41]
	v_add_f64 v[26:27], v[113:114], v[42:43]
	;; [unrolled: 1-line block ×4, first 2 shown]
	v_fma_f64 v[32:33], v[101:102], s[2:3], v[79:80]
	v_fma_f64 v[34:35], v[68:69], s[6:7], v[81:82]
	;; [unrolled: 1-line block ×20, first 2 shown]
	ds_store_b128 v78, v[12:15]
	ds_store_b128 v78, v[16:19] offset:864
	ds_store_b128 v78, v[20:23] offset:1728
	;; [unrolled: 1-line block ×14, first 2 shown]
	s_and_saveexec_b32 s1, s0
	s_cbranch_execz .LBB0_27
; %bb.26:
	v_mov_b32_e32 v12, 0x10e
	s_delay_alu instid0(VALU_DEP_1) | instskip(NEXT) | instid1(VALU_DEP_1)
	v_cndmask_b32_e64 v12, 0xffffffee, v12, s0
	v_add_lshl_u32 v76, v72, v12, 1
	s_delay_alu instid0(VALU_DEP_1) | instskip(NEXT) | instid1(VALU_DEP_1)
	v_lshlrev_b64 v[12:13], 4, v[76:77]
	v_add_co_u32 v14, s0, s4, v12
	s_delay_alu instid0(VALU_DEP_1) | instskip(NEXT) | instid1(VALU_DEP_2)
	v_add_co_ci_u32_e64 v15, s0, s5, v13, s0
	v_add_co_u32 v12, s0, 0x1000, v14
	s_delay_alu instid0(VALU_DEP_1) | instskip(SKIP_1) | instid1(VALU_DEP_1)
	v_add_co_ci_u32_e64 v13, s0, 0, v15, s0
	v_add_co_u32 v16, s0, 0x11d0, v14
	v_add_co_ci_u32_e64 v17, s0, 0, v15, s0
	s_clause 0x1
	global_load_b128 v[12:15], v[12:13], off offset:464
	global_load_b128 v[16:19], v[16:17], off offset:16
	s_waitcnt vmcnt(1)
	v_mul_f64 v[20:21], v[0:1], v[14:15]
	s_waitcnt vmcnt(0)
	v_mul_f64 v[22:23], v[4:5], v[18:19]
	v_mul_f64 v[14:15], v[2:3], v[14:15]
	v_mul_f64 v[18:19], v[6:7], v[18:19]
	s_delay_alu instid0(VALU_DEP_4) | instskip(NEXT) | instid1(VALU_DEP_4)
	v_fma_f64 v[2:3], v[2:3], v[12:13], v[20:21]
	v_fma_f64 v[6:7], v[6:7], v[16:17], v[22:23]
	s_delay_alu instid0(VALU_DEP_4) | instskip(NEXT) | instid1(VALU_DEP_4)
	v_fma_f64 v[0:1], v[0:1], v[12:13], -v[14:15]
	v_fma_f64 v[4:5], v[4:5], v[16:17], -v[18:19]
	s_delay_alu instid0(VALU_DEP_4) | instskip(NEXT) | instid1(VALU_DEP_4)
	v_add_f64 v[18:19], v[10:11], v[2:3]
	v_add_f64 v[12:13], v[2:3], v[6:7]
	s_delay_alu instid0(VALU_DEP_3) | instskip(SKIP_2) | instid1(VALU_DEP_4)
	v_add_f64 v[14:15], v[0:1], v[4:5]
	v_add_f64 v[16:17], v[0:1], -v[4:5]
	v_add_f64 v[0:1], v[8:9], v[0:1]
	v_fma_f64 v[10:11], v[12:13], -0.5, v[10:11]
	v_add_f64 v[12:13], v[2:3], -v[6:7]
	v_fma_f64 v[14:15], v[14:15], -0.5, v[8:9]
	v_add_f64 v[2:3], v[18:19], v[6:7]
	v_add_f64 v[0:1], v[0:1], v[4:5]
	v_fma_f64 v[6:7], v[16:17], s[2:3], v[10:11]
	v_fma_f64 v[10:11], v[16:17], s[6:7], v[10:11]
	;; [unrolled: 1-line block ×4, first 2 shown]
	ds_store_b128 v78, v[0:3] offset:4320
	ds_store_b128 v78, v[8:11] offset:8928
	;; [unrolled: 1-line block ×3, first 2 shown]
.LBB0_27:
	s_or_b32 exec_lo, exec_lo, s1
	s_waitcnt lgkmcnt(0)
	s_barrier
	buffer_gl0_inv
	s_and_saveexec_b32 s0, vcc_lo
	s_cbranch_execz .LBB0_29
; %bb.28:
	v_lshl_add_u32 v34, v72, 4, 0
	v_dual_mov_b32 v73, 0 :: v_dual_add_nc_u32 v8, 54, v72
	v_add_co_u32 v36, vcc_lo, s8, v74
	ds_load_b128 v[0:3], v34
	ds_load_b128 v[4:7], v34 offset:864
	v_dual_mov_b32 v9, v73 :: v_dual_add_nc_u32 v12, 0x6c, v72
	v_lshlrev_b64 v[10:11], 4, v[72:73]
	v_add_co_ci_u32_e32 v37, vcc_lo, s9, v75, vcc_lo
	s_delay_alu instid0(VALU_DEP_3) | instskip(SKIP_1) | instid1(VALU_DEP_4)
	v_lshlrev_b64 v[8:9], 4, v[8:9]
	v_dual_mov_b32 v13, v73 :: v_dual_add_nc_u32 v14, 0xa2, v72
	v_add_co_u32 v10, vcc_lo, v36, v10
	s_delay_alu instid0(VALU_DEP_4) | instskip(NEXT) | instid1(VALU_DEP_4)
	v_add_co_ci_u32_e32 v11, vcc_lo, v37, v11, vcc_lo
	v_add_co_u32 v8, vcc_lo, v36, v8
	v_add_co_ci_u32_e32 v9, vcc_lo, v37, v9, vcc_lo
	v_lshlrev_b64 v[12:13], 4, v[12:13]
	v_mov_b32_e32 v15, v73
	v_dual_mov_b32 v23, v73 :: v_dual_add_nc_u32 v24, 0x144, v72
	s_waitcnt lgkmcnt(1)
	global_store_b128 v[10:11], v[0:3], off
	s_waitcnt lgkmcnt(0)
	global_store_b128 v[8:9], v[4:7], off
	v_dual_mov_b32 v9, v73 :: v_dual_add_nc_u32 v8, 0xd8, v72
	v_add_nc_u32_e32 v22, 0x10e, v72
	v_add_co_u32 v16, vcc_lo, v36, v12
	v_add_co_ci_u32_e32 v17, vcc_lo, v37, v13, vcc_lo
	ds_load_b128 v[0:3], v34 offset:1728
	ds_load_b128 v[4:7], v34 offset:2592
	v_lshlrev_b64 v[18:19], 4, v[14:15]
	v_lshlrev_b64 v[20:21], 4, v[8:9]
	ds_load_b128 v[8:11], v34 offset:3456
	ds_load_b128 v[12:15], v34 offset:4320
	v_lshlrev_b64 v[22:23], 4, v[22:23]
	v_mov_b32_e32 v25, v73
	v_add_co_u32 v18, vcc_lo, v36, v18
	v_add_co_ci_u32_e32 v19, vcc_lo, v37, v19, vcc_lo
	v_add_co_u32 v20, vcc_lo, v36, v20
	v_add_co_ci_u32_e32 v21, vcc_lo, v37, v21, vcc_lo
	v_add_co_u32 v22, vcc_lo, v36, v22
	v_add_co_ci_u32_e32 v23, vcc_lo, v37, v23, vcc_lo
	s_waitcnt lgkmcnt(3)
	global_store_b128 v[16:17], v[0:3], off
	s_waitcnt lgkmcnt(2)
	global_store_b128 v[18:19], v[4:7], off
	;; [unrolled: 2-line block ×4, first 2 shown]
	v_add_nc_u32_e32 v8, 0x17a, v72
	v_lshlrev_b64 v[0:1], 4, v[24:25]
	v_dual_mov_b32 v9, v73 :: v_dual_add_nc_u32 v10, 0x1b0, v72
	v_dual_mov_b32 v11, v73 :: v_dual_add_nc_u32 v22, 0x1e6, v72
	;; [unrolled: 1-line block ×3, first 2 shown]
	s_delay_alu instid0(VALU_DEP_4)
	v_add_co_u32 v16, vcc_lo, v36, v0
	v_add_co_ci_u32_e32 v17, vcc_lo, v37, v1, vcc_lo
	ds_load_b128 v[0:3], v34 offset:5184
	ds_load_b128 v[4:7], v34 offset:6048
	v_lshlrev_b64 v[18:19], 4, v[8:9]
	v_lshlrev_b64 v[20:21], 4, v[10:11]
	ds_load_b128 v[8:11], v34 offset:6912
	ds_load_b128 v[12:15], v34 offset:7776
	v_lshlrev_b64 v[22:23], 4, v[22:23]
	v_add_co_u32 v18, vcc_lo, v36, v18
	v_add_co_ci_u32_e32 v19, vcc_lo, v37, v19, vcc_lo
	v_add_co_u32 v20, vcc_lo, v36, v20
	v_add_co_ci_u32_e32 v21, vcc_lo, v37, v21, vcc_lo
	v_add_co_u32 v22, vcc_lo, v36, v22
	s_waitcnt lgkmcnt(3)
	global_store_b128 v[16:17], v[0:3], off
	s_waitcnt lgkmcnt(2)
	global_store_b128 v[18:19], v[4:7], off
	v_dual_mov_b32 v3, v73 :: v_dual_add_nc_u32 v2, 0x252, v72
	v_add_co_ci_u32_e32 v23, vcc_lo, v37, v23, vcc_lo
	v_lshlrev_b64 v[0:1], 4, v[24:25]
	s_waitcnt lgkmcnt(1)
	global_store_b128 v[20:21], v[8:11], off
	s_waitcnt lgkmcnt(0)
	global_store_b128 v[22:23], v[12:15], off
	v_lshlrev_b64 v[8:9], 4, v[2:3]
	v_dual_mov_b32 v11, v73 :: v_dual_add_nc_u32 v10, 0x288, v72
	v_add_co_u32 v24, vcc_lo, v36, v0
	v_add_co_ci_u32_e32 v25, vcc_lo, v37, v1, vcc_lo
	s_delay_alu instid0(VALU_DEP_4)
	v_add_co_u32 v26, vcc_lo, v36, v8
	v_add_co_ci_u32_e32 v27, vcc_lo, v37, v9, vcc_lo
	v_lshlrev_b64 v[8:9], 4, v[10:11]
	v_dual_mov_b32 v17, v73 :: v_dual_add_nc_u32 v16, 0x2be, v72
	v_dual_mov_b32 v19, v73 :: v_dual_add_nc_u32 v18, 0x2f4, v72
	ds_load_b128 v[0:3], v34 offset:8640
	ds_load_b128 v[4:7], v34 offset:9504
	v_add_co_u32 v28, vcc_lo, v36, v8
	v_add_co_ci_u32_e32 v29, vcc_lo, v37, v9, vcc_lo
	ds_load_b128 v[8:11], v34 offset:10368
	ds_load_b128 v[12:15], v34 offset:11232
	v_lshlrev_b64 v[30:31], 4, v[16:17]
	v_lshlrev_b64 v[32:33], 4, v[18:19]
	ds_load_b128 v[16:19], v34 offset:12096
	ds_load_b128 v[20:23], v34 offset:12960
	v_add_nc_u32_e32 v72, 0x32a, v72
	v_add_co_u32 v30, vcc_lo, v36, v30
	s_delay_alu instid0(VALU_DEP_2) | instskip(SKIP_3) | instid1(VALU_DEP_4)
	v_lshlrev_b64 v[34:35], 4, v[72:73]
	v_add_co_ci_u32_e32 v31, vcc_lo, v37, v31, vcc_lo
	v_add_co_u32 v32, vcc_lo, v36, v32
	v_add_co_ci_u32_e32 v33, vcc_lo, v37, v33, vcc_lo
	v_add_co_u32 v34, vcc_lo, v36, v34
	v_add_co_ci_u32_e32 v35, vcc_lo, v37, v35, vcc_lo
	s_waitcnt lgkmcnt(5)
	global_store_b128 v[24:25], v[0:3], off
	s_waitcnt lgkmcnt(4)
	global_store_b128 v[26:27], v[4:7], off
	;; [unrolled: 2-line block ×6, first 2 shown]
.LBB0_29:
	s_nop 0
	s_sendmsg sendmsg(MSG_DEALLOC_VGPRS)
	s_endpgm
	.section	.rodata,"a",@progbits
	.p2align	6, 0x0
	.amdhsa_kernel fft_rtc_fwd_len864_factors_3_6_16_3_wgs_54_tpt_54_halfLds_dp_ip_CI_unitstride_sbrr_C2R_dirReg
		.amdhsa_group_segment_fixed_size 0
		.amdhsa_private_segment_fixed_size 0
		.amdhsa_kernarg_size 88
		.amdhsa_user_sgpr_count 15
		.amdhsa_user_sgpr_dispatch_ptr 0
		.amdhsa_user_sgpr_queue_ptr 0
		.amdhsa_user_sgpr_kernarg_segment_ptr 1
		.amdhsa_user_sgpr_dispatch_id 0
		.amdhsa_user_sgpr_private_segment_size 0
		.amdhsa_wavefront_size32 1
		.amdhsa_uses_dynamic_stack 0
		.amdhsa_enable_private_segment 0
		.amdhsa_system_sgpr_workgroup_id_x 1
		.amdhsa_system_sgpr_workgroup_id_y 0
		.amdhsa_system_sgpr_workgroup_id_z 0
		.amdhsa_system_sgpr_workgroup_info 0
		.amdhsa_system_vgpr_workitem_id 0
		.amdhsa_next_free_vgpr 159
		.amdhsa_next_free_sgpr 21
		.amdhsa_reserve_vcc 1
		.amdhsa_float_round_mode_32 0
		.amdhsa_float_round_mode_16_64 0
		.amdhsa_float_denorm_mode_32 3
		.amdhsa_float_denorm_mode_16_64 3
		.amdhsa_dx10_clamp 1
		.amdhsa_ieee_mode 1
		.amdhsa_fp16_overflow 0
		.amdhsa_workgroup_processor_mode 1
		.amdhsa_memory_ordered 1
		.amdhsa_forward_progress 0
		.amdhsa_shared_vgpr_count 0
		.amdhsa_exception_fp_ieee_invalid_op 0
		.amdhsa_exception_fp_denorm_src 0
		.amdhsa_exception_fp_ieee_div_zero 0
		.amdhsa_exception_fp_ieee_overflow 0
		.amdhsa_exception_fp_ieee_underflow 0
		.amdhsa_exception_fp_ieee_inexact 0
		.amdhsa_exception_int_div_zero 0
	.end_amdhsa_kernel
	.text
.Lfunc_end0:
	.size	fft_rtc_fwd_len864_factors_3_6_16_3_wgs_54_tpt_54_halfLds_dp_ip_CI_unitstride_sbrr_C2R_dirReg, .Lfunc_end0-fft_rtc_fwd_len864_factors_3_6_16_3_wgs_54_tpt_54_halfLds_dp_ip_CI_unitstride_sbrr_C2R_dirReg
                                        ; -- End function
	.section	.AMDGPU.csdata,"",@progbits
; Kernel info:
; codeLenInByte = 12248
; NumSgprs: 23
; NumVgprs: 159
; ScratchSize: 0
; MemoryBound: 0
; FloatMode: 240
; IeeeMode: 1
; LDSByteSize: 0 bytes/workgroup (compile time only)
; SGPRBlocks: 2
; VGPRBlocks: 19
; NumSGPRsForWavesPerEU: 23
; NumVGPRsForWavesPerEU: 159
; Occupancy: 9
; WaveLimiterHint : 1
; COMPUTE_PGM_RSRC2:SCRATCH_EN: 0
; COMPUTE_PGM_RSRC2:USER_SGPR: 15
; COMPUTE_PGM_RSRC2:TRAP_HANDLER: 0
; COMPUTE_PGM_RSRC2:TGID_X_EN: 1
; COMPUTE_PGM_RSRC2:TGID_Y_EN: 0
; COMPUTE_PGM_RSRC2:TGID_Z_EN: 0
; COMPUTE_PGM_RSRC2:TIDIG_COMP_CNT: 0
	.text
	.p2alignl 7, 3214868480
	.fill 96, 4, 3214868480
	.type	__hip_cuid_45c70f2019410af3,@object ; @__hip_cuid_45c70f2019410af3
	.section	.bss,"aw",@nobits
	.globl	__hip_cuid_45c70f2019410af3
__hip_cuid_45c70f2019410af3:
	.byte	0                               ; 0x0
	.size	__hip_cuid_45c70f2019410af3, 1

	.ident	"AMD clang version 19.0.0git (https://github.com/RadeonOpenCompute/llvm-project roc-6.4.0 25133 c7fe45cf4b819c5991fe208aaa96edf142730f1d)"
	.section	".note.GNU-stack","",@progbits
	.addrsig
	.addrsig_sym __hip_cuid_45c70f2019410af3
	.amdgpu_metadata
---
amdhsa.kernels:
  - .args:
      - .actual_access:  read_only
        .address_space:  global
        .offset:         0
        .size:           8
        .value_kind:     global_buffer
      - .offset:         8
        .size:           8
        .value_kind:     by_value
      - .actual_access:  read_only
        .address_space:  global
        .offset:         16
        .size:           8
        .value_kind:     global_buffer
      - .actual_access:  read_only
        .address_space:  global
        .offset:         24
        .size:           8
        .value_kind:     global_buffer
      - .offset:         32
        .size:           8
        .value_kind:     by_value
      - .actual_access:  read_only
        .address_space:  global
        .offset:         40
        .size:           8
        .value_kind:     global_buffer
      - .actual_access:  read_only
        .address_space:  global
        .offset:         48
        .size:           8
        .value_kind:     global_buffer
      - .offset:         56
        .size:           4
        .value_kind:     by_value
      - .actual_access:  read_only
        .address_space:  global
        .offset:         64
        .size:           8
        .value_kind:     global_buffer
      - .actual_access:  read_only
        .address_space:  global
        .offset:         72
        .size:           8
        .value_kind:     global_buffer
      - .address_space:  global
        .offset:         80
        .size:           8
        .value_kind:     global_buffer
    .group_segment_fixed_size: 0
    .kernarg_segment_align: 8
    .kernarg_segment_size: 88
    .language:       OpenCL C
    .language_version:
      - 2
      - 0
    .max_flat_workgroup_size: 54
    .name:           fft_rtc_fwd_len864_factors_3_6_16_3_wgs_54_tpt_54_halfLds_dp_ip_CI_unitstride_sbrr_C2R_dirReg
    .private_segment_fixed_size: 0
    .sgpr_count:     23
    .sgpr_spill_count: 0
    .symbol:         fft_rtc_fwd_len864_factors_3_6_16_3_wgs_54_tpt_54_halfLds_dp_ip_CI_unitstride_sbrr_C2R_dirReg.kd
    .uniform_work_group_size: 1
    .uses_dynamic_stack: false
    .vgpr_count:     159
    .vgpr_spill_count: 0
    .wavefront_size: 32
    .workgroup_processor_mode: 1
amdhsa.target:   amdgcn-amd-amdhsa--gfx1100
amdhsa.version:
  - 1
  - 2
...

	.end_amdgpu_metadata
